;; amdgpu-corpus repo=ROCm/rocFFT kind=compiled arch=gfx1201 opt=O3
	.text
	.amdgcn_target "amdgcn-amd-amdhsa--gfx1201"
	.amdhsa_code_object_version 6
	.protected	bluestein_single_back_len405_dim1_sp_op_CI_CI ; -- Begin function bluestein_single_back_len405_dim1_sp_op_CI_CI
	.globl	bluestein_single_back_len405_dim1_sp_op_CI_CI
	.p2align	8
	.type	bluestein_single_back_len405_dim1_sp_op_CI_CI,@function
bluestein_single_back_len405_dim1_sp_op_CI_CI: ; @bluestein_single_back_len405_dim1_sp_op_CI_CI
; %bb.0:
	s_load_b128 s[16:19], s[0:1], 0x28
	v_mul_u32_u24_e32 v1, 0x97c, v0
	v_mov_b32_e32 v89, 0
	s_mov_b32 s2, exec_lo
	s_delay_alu instid0(VALU_DEP_2) | instskip(NEXT) | instid1(VALU_DEP_1)
	v_lshrrev_b32_e32 v30, 16, v1
	v_lshl_add_u32 v88, ttmp9, 2, v30
	s_wait_kmcnt 0x0
	s_delay_alu instid0(VALU_DEP_1)
	v_cmpx_gt_u64_e64 s[16:17], v[88:89]
	s_cbranch_execz .LBB0_2
; %bb.1:
	s_clause 0x1
	s_load_b128 s[4:7], s[0:1], 0x18
	s_load_b128 s[8:11], s[0:1], 0x0
	v_mul_lo_u16 v1, v30, 27
	s_delay_alu instid0(VALU_DEP_1) | instskip(NEXT) | instid1(VALU_DEP_1)
	v_sub_nc_u16 v62, v0, v1
	v_and_b32_e32 v126, 0xffff, v62
	s_wait_kmcnt 0x0
	s_load_b128 s[12:15], s[4:5], 0x0
	s_wait_kmcnt 0x0
	v_mad_co_u64_u32 v[0:1], null, s14, v88, 0
	v_mad_co_u64_u32 v[2:3], null, s12, v126, 0
	s_mul_u64 s[2:3], s[12:13], 0x288
	s_mul_i32 s4, s13, 0xfffff6b8
	s_delay_alu instid0(SALU_CYCLE_1) | instskip(NEXT) | instid1(VALU_DEP_1)
	s_sub_co_i32 s4, s4, s12
	v_mad_co_u64_u32 v[4:5], null, s15, v88, v[1:2]
	s_delay_alu instid0(VALU_DEP_1) | instskip(NEXT) | instid1(VALU_DEP_3)
	v_mov_b32_e32 v1, v4
	v_mad_co_u64_u32 v[5:6], null, s13, v126, v[3:4]
	v_add_co_u32 v73, null, 0x51, v126
	s_delay_alu instid0(VALU_DEP_3)
	v_lshlrev_b64_e32 v[0:1], 3, v[0:1]
	v_lshlrev_b32_e32 v80, 3, v126
	v_add_co_u32 v64, null, v126, 54
	v_mov_b32_e32 v3, v5
	v_add_co_u32 v72, null, 0x6c, v126
	v_add_co_u32 v0, vcc_lo, s18, v0
	s_delay_alu instid0(VALU_DEP_3)
	v_lshlrev_b64_e32 v[2:3], 3, v[2:3]
	v_add_co_ci_u32_e32 v1, vcc_lo, s19, v1, vcc_lo
	s_clause 0x5
	global_load_b64 v[96:97], v80, s[8:9] offset:648
	global_load_b64 v[94:95], v80, s[8:9] offset:1296
	;; [unrolled: 1-line block ×4, first 2 shown]
	global_load_b64 v[104:105], v80, s[8:9]
	global_load_b64 v[100:101], v80, s[8:9] offset:216
	v_add_co_u32 v0, vcc_lo, v0, v2
	s_wait_alu 0xfffd
	v_add_co_ci_u32_e32 v1, vcc_lo, v1, v3, vcc_lo
	v_mul_u32_u24_e32 v35, 5, v64
	s_delay_alu instid0(VALU_DEP_3) | instskip(SKIP_1) | instid1(VALU_DEP_3)
	v_add_co_u32 v2, vcc_lo, v0, s2
	s_wait_alu 0xfffd
	v_add_co_ci_u32_e32 v3, vcc_lo, s3, v1, vcc_lo
	global_load_b64 v[0:1], v[0:1], off
	global_load_b64 v[102:103], v80, s[8:9] offset:864
	v_add_co_u32 v6, vcc_lo, v2, s2
	s_wait_alu 0xfffd
	v_add_co_ci_u32_e32 v7, vcc_lo, s3, v3, vcc_lo
	global_load_b64 v[4:5], v[2:3], off
	v_add_co_u32 v8, vcc_lo, v6, s2
	s_wait_alu 0xfffd
	v_add_co_ci_u32_e32 v9, vcc_lo, s3, v7, vcc_lo
	s_clause 0x1
	global_load_b64 v[6:7], v[6:7], off
	global_load_b64 v[2:3], v[8:9], off
	v_add_co_u32 v10, vcc_lo, v8, s2
	s_wait_alu 0xfffd
	v_add_co_ci_u32_e32 v11, vcc_lo, s3, v9, vcc_lo
	v_and_b32_e32 v30, 3, v30
	v_and_b32_e32 v31, 0xff, v62
	;; [unrolled: 1-line block ×3, first 2 shown]
	s_delay_alu instid0(VALU_DEP_4)
	v_mad_co_u64_u32 v[12:13], null, 0xfffff6b8, s12, v[10:11]
	global_load_b64 v[10:11], v[10:11], off
	v_mul_u32_u24_e32 v30, 0x195, v30
	v_mul_lo_u16 v31, 0xcd, v31
	v_and_b32_e32 v46, 0xff, v73
	v_and_b32_e32 v40, 0xff, v72
	v_add_nc_u32_e32 v13, s4, v13
	v_add_co_u32 v14, vcc_lo, v12, s2
	v_lshlrev_b32_e32 v63, 3, v30
	v_mul_lo_u16 v30, v62, 5
	s_wait_alu 0xfffd
	v_add_co_ci_u32_e32 v15, vcc_lo, s3, v13, vcc_lo
	v_add_co_u32 v16, vcc_lo, v14, s2
	global_load_b64 v[12:13], v[12:13], off
	s_wait_alu 0xfffd
	v_add_co_ci_u32_e32 v17, vcc_lo, s3, v15, vcc_lo
	v_add_co_u32 v18, vcc_lo, v16, s2
	s_clause 0x1
	global_load_b64 v[106:107], v80, s[8:9] offset:1512
	global_load_b64 v[108:109], v80, s[8:9] offset:2808
	global_load_b64 v[8:9], v[14:15], off
	s_wait_alu 0xfffd
	v_add_co_ci_u32_e32 v19, vcc_lo, s3, v17, vcc_lo
	v_add_co_u32 v20, vcc_lo, v18, s2
	s_clause 0x3
	global_load_b64 v[110:111], v80, s[8:9] offset:432
	global_load_b64 v[114:115], v80, s[8:9] offset:1080
	;; [unrolled: 1-line block ×4, first 2 shown]
	global_load_b64 v[24:25], v[16:17], off
	global_load_b64 v[118:119], v80, s[8:9] offset:1728
	global_load_b64 v[22:23], v[18:19], off
	s_wait_alu 0xfffd
	v_add_co_ci_u32_e32 v21, vcc_lo, s3, v19, vcc_lo
	v_and_b32_e32 v30, 0xffff, v30
	v_lshl_add_u32 v134, v35, 3, v63
	v_mul_lo_u16 v35, 0xcd, v33
	s_delay_alu instid0(VALU_DEP_4)
	v_mad_co_u64_u32 v[14:15], null, 0xfffff6b8, s12, v[20:21]
	global_load_b64 v[20:21], v[20:21], off
	v_lshl_add_u32 v91, v30, 3, v63
	v_lshrrev_b16 v30, 10, v31
	v_add_nc_u32_e32 v15, s4, v15
	v_add_co_u32 v18, vcc_lo, v14, s2
	s_wait_loadcnt 0x11
	v_mul_f32_e32 v42, v0, v105
	s_wait_alu 0xfffd
	v_add_co_ci_u32_e32 v19, vcc_lo, s3, v15, vcc_lo
	global_load_b64 v[16:17], v[14:15], off
	v_add_co_u32 v14, vcc_lo, v18, s2
	s_wait_alu 0xfffd
	v_add_co_ci_u32_e32 v15, vcc_lo, s3, v19, vcc_lo
	global_load_b64 v[18:19], v[18:19], off
	v_add_co_u32 v26, vcc_lo, v14, s2
	s_wait_alu 0xfffd
	v_add_co_ci_u32_e32 v27, vcc_lo, s3, v15, vcc_lo
	global_load_b64 v[14:15], v[14:15], off
	v_add_co_u32 v28, vcc_lo, v26, s2
	s_wait_alu 0xfffd
	v_add_co_ci_u32_e32 v29, vcc_lo, s3, v27, vcc_lo
	global_load_b64 v[26:27], v[26:27], off
	global_load_b64 v[120:121], v80, s[8:9] offset:3024
	global_load_b64 v[28:29], v[28:29], off
	v_add_co_u32 v65, s2, v126, 27
	s_wait_loadcnt 0x14
	v_mul_f32_e32 v43, v6, v95
	s_load_b128 s[4:7], s[6:7], 0x0
	v_cmp_gt_u16_e32 vcc_lo, 15, v62
	v_and_b32_e32 v32, 0xff, v65
	v_mul_u32_u24_e32 v34, 5, v65
	v_fma_f32 v43, v7, v94, -v43
	v_add_co_ci_u32_e64 v41, null, 0, 0, s2
	s_delay_alu instid0(VALU_DEP_4) | instskip(NEXT) | instid1(VALU_DEP_4)
	v_mul_lo_u16 v31, 0xcd, v32
	v_lshl_add_u32 v135, v34, 3, v63
	v_mul_lo_u16 v34, v30, 5
	s_delay_alu instid0(VALU_DEP_3) | instskip(NEXT) | instid1(VALU_DEP_2)
	v_lshrrev_b16 v31, 10, v31
	v_sub_nc_u16 v36, v62, v34
	v_lshrrev_b16 v34, 10, v35
	s_wait_loadcnt 0x11
	v_mul_f32_e32 v48, v12, v101
	v_mul_lo_u16 v38, v31, 5
	v_lshlrev_b16 v44, 1, v36
	v_mul_lo_u16 v45, v34, 5
	s_delay_alu instid0(VALU_DEP_3) | instskip(SKIP_4) | instid1(VALU_DEP_3)
	v_sub_nc_u16 v47, v65, v38
	v_fma_f32 v38, v1, v104, -v42
	v_mul_f32_e32 v42, v7, v95
	v_mul_f32_e32 v7, v10, v99
	v_mul_lo_u16 v37, 0xcd, v46
	v_fmac_f32_e32 v42, v6, v94
	v_mul_f32_e32 v6, v13, v101
	s_delay_alu instid0(VALU_DEP_3) | instskip(SKIP_3) | instid1(VALU_DEP_3)
	v_lshrrev_b16 v35, 10, v37
	v_mul_f32_e32 v37, v1, v105
	v_mul_f32_e32 v1, v4, v97
	v_mul_lo_u16 v39, 0xcd, v40
	v_dual_fmac_f32 v37, v0, v104 :: v_dual_mul_f32 v0, v5, v97
	v_add_nc_u32_e32 v127, v63, v80
	s_delay_alu instid0(VALU_DEP_4) | instskip(NEXT) | instid1(VALU_DEP_3)
	v_fma_f32 v1, v5, v96, -v1
	v_dual_mul_f32 v5, v2, v93 :: v_dual_fmac_f32 v0, v4, v96
	v_mul_f32_e32 v4, v3, v93
	s_delay_alu instid0(VALU_DEP_4) | instskip(NEXT) | instid1(VALU_DEP_3)
	v_add_nc_u32_e32 v128, 0x800, v127
	v_fma_f32 v5, v3, v92, -v5
	v_fma_f32 v3, v11, v98, -v7
	s_delay_alu instid0(VALU_DEP_4) | instskip(SKIP_2) | instid1(VALU_DEP_1)
	v_fmac_f32_e32 v4, v2, v92
	v_mul_f32_e32 v2, v11, v99
	s_wait_loadcnt 0xe
	v_dual_mul_f32 v11, v8, v103 :: v_dual_fmac_f32 v2, v10, v98
	v_mul_f32_e32 v10, v9, v103
	ds_store_b64 v127, v[0:1] offset:648
	ds_store_b64 v127, v[42:43] offset:1296
	;; [unrolled: 1-line block ×4, first 2 shown]
	v_fma_f32 v11, v9, v102, -v11
	s_wait_loadcnt 0x9
	v_mul_f32_e32 v1, v24, v107
	v_fmac_f32_e32 v6, v12, v100
	s_wait_loadcnt 0x7
	v_mul_f32_e32 v2, v23, v117
	v_dual_mul_f32 v3, v22, v117 :: v_dual_mul_f32 v0, v25, v107
	s_wait_loadcnt 0x6
	v_mul_f32_e32 v5, v20, v109
	v_mul_f32_e32 v4, v21, v109
	v_fma_f32 v1, v25, v106, -v1
	v_fma_f32 v3, v23, v116, -v3
	v_dual_fmac_f32 v0, v24, v106 :: v_dual_and_b32 v23, 0xfe, v44
	v_fma_f32 v5, v21, v108, -v5
	v_mul_lo_u16 v21, v35, 5
	v_sub_nc_u16 v24, v64, v45
	v_fmac_f32_e32 v4, v20, v108
	v_and_b32_e32 v20, 0xff, v47
	v_lshlrev_b32_e32 v47, 3, v23
	s_wait_loadcnt 0x4
	v_mul_f32_e32 v9, v18, v115
	v_fma_f32 v7, v13, v100, -v48
	s_wait_loadcnt 0x3
	v_mul_f32_e32 v13, v14, v119
	ds_store_2addr_b64 v127, v[37:38], v[6:7] offset1:27
	v_mul_f32_e32 v7, v16, v111
	v_mul_f32_e32 v12, v15, v119
	;; [unrolled: 1-line block ×3, first 2 shown]
	v_fma_f32 v9, v19, v114, -v9
	v_fma_f32 v13, v15, v118, -v13
	;; [unrolled: 1-line block ×3, first 2 shown]
	s_wait_loadcnt 0x2
	v_dual_mul_f32 v17, v26, v113 :: v_dual_fmac_f32 v10, v8, v102
	v_mul_f32_e32 v8, v19, v115
	v_fmac_f32_e32 v12, v14, v118
	v_mul_f32_e32 v14, v27, v113
	v_fmac_f32_e32 v6, v16, v110
	s_wait_loadcnt 0x0
	v_mul_f32_e32 v16, v29, v121
	v_fmac_f32_e32 v8, v18, v114
	v_mul_f32_e32 v18, v28, v121
	v_fmac_f32_e32 v2, v22, v116
	v_fmac_f32_e32 v14, v26, v112
	v_fma_f32 v15, v27, v112, -v17
	v_fmac_f32_e32 v16, v28, v120
	v_fma_f32 v17, v29, v120, -v18
	v_lshrrev_b16 v22, 10, v39
	v_sub_nc_u16 v39, v73, v21
	v_and_b32_e32 v21, 0xff, v24
	ds_store_b64 v127, v[6:7] offset:432
	ds_store_2addr_b64 v127, v[10:11], v[8:9] offset0:108 offset1:135
	ds_store_2addr_b64 v127, v[0:1], v[12:13] offset0:189 offset1:216
	;; [unrolled: 1-line block ×4, first 2 shown]
	global_wb scope:SCOPE_SE
	s_wait_dscnt 0x0
	s_wait_kmcnt 0x0
	s_barrier_signal -1
	s_barrier_wait -1
	global_inv scope:SCOPE_SE
	ds_load_2addr_b64 v[0:3], v127 offset1:27
	ds_load_2addr_b64 v[4:7], v127 offset0:54 offset1:81
	ds_load_2addr_b64 v[8:11], v127 offset0:162 offset1:189
	;; [unrolled: 1-line block ×6, first 2 shown]
	ds_load_b64 v[27:28], v127 offset:3024
	global_wb scope:SCOPE_SE
	s_wait_dscnt 0x0
	s_barrier_signal -1
	s_barrier_wait -1
	global_inv scope:SCOPE_SE
	v_mul_lo_u16 v29, v22, 5
	v_add_f32_e32 v37, v0, v6
	v_sub_f32_e32 v51, v6, v8
	v_add_f32_e32 v57, v9, v15
	v_sub_f32_e32 v79, v42, v18
	v_dual_add_f32 v38, v8, v14 :: v_dual_sub_f32 v85, v19, v43
	v_dual_sub_f32 v52, v16, v14 :: v_dual_sub_f32 v87, v43, v19
	v_dual_sub_f32 v54, v8, v6 :: v_dual_sub_f32 v123, v13, v45
	v_dual_sub_f32 v55, v14, v16 :: v_dual_add_f32 v56, v1, v7
	v_sub_f32_e32 v125, v27, v44
	v_dual_add_f32 v66, v7, v17 :: v_dual_add_f32 v131, v5, v26
	v_add_f32_e32 v69, v2, v23
	v_sub_f32_e32 v58, v6, v16
	v_dual_sub_f32 v60, v7, v9 :: v_dual_add_f32 v129, v25, v27
	v_sub_f32_e32 v61, v17, v15
	v_sub_f32_e32 v75, v23, v10
	v_dual_add_f32 v77, v23, v18 :: v_dual_sub_f32 v78, v10, v23
	v_add_f32_e32 v51, v51, v52
	v_add_f32_e32 v81, v3, v24
	v_dual_sub_f32 v83, v23, v18 :: v_dual_lshlrev_b32 v48, 4, v20
	v_sub_f32_e32 v23, v24, v11
	v_dual_add_f32 v90, v12, v44 :: v_dual_sub_f32 v49, v7, v17
	v_dual_sub_f32 v50, v9, v15 :: v_dual_add_f32 v89, v4, v25
	v_add_f32_e32 v53, v6, v16
	v_dual_sub_f32 v67, v9, v7 :: v_dual_sub_f32 v68, v15, v17
	v_add_f32_e32 v133, v26, v28
	v_dual_add_f32 v70, v10, v42 :: v_dual_add_f32 v137, v13, v45
	v_dual_add_f32 v82, v11, v43 :: v_dual_add_f32 v37, v37, v8
	v_add_f32_e32 v86, v24, v19
	v_fma_f32 v7, -0.5, v57, v1
	v_sub_f32_e32 v59, v8, v14
	v_fma_f32 v6, -0.5, v38, v0
	v_fma_f32 v1, -0.5, v66, v1
	v_dual_add_f32 v52, v54, v55 :: v_dual_add_f32 v55, v69, v10
	v_add_f32_e32 v38, v56, v9
	v_sub_f32_e32 v84, v10, v42
	v_sub_f32_e32 v122, v26, v28
	v_add_f32_e32 v54, v60, v61
	v_add_f32_e32 v61, v23, v85
	v_fma_f32 v10, -0.5, v90, v4
	v_sub_f32_e32 v74, v11, v43
	v_sub_f32_e32 v124, v25, v12
	;; [unrolled: 1-line block ×4, first 2 shown]
	v_fma_f32 v0, -0.5, v53, v0
	v_add_f32_e32 v53, v67, v68
	v_fma_f32 v8, -0.5, v70, v2
	v_fma_f32 v2, -0.5, v77, v2
	v_add_f32_e32 v77, v37, v14
	v_fma_f32 v9, -0.5, v82, v3
	v_fmac_f32_e32 v3, -0.5, v86
	v_add_f32_e32 v67, v89, v12
	v_dual_sub_f32 v132, v25, v27 :: v_dual_add_f32 v69, v130, v136
	v_dual_sub_f32 v25, v26, v13 :: v_dual_sub_f32 v26, v13, v26
	v_dual_add_f32 v70, v131, v13 :: v_dual_fmamk_f32 v37, v122, 0x3f737871, v10
	v_fmamk_f32 v13, v58, 0xbf737871, v7
	v_dual_sub_f32 v71, v24, v19 :: v_dual_sub_f32 v24, v11, v24
	v_add_f32_e32 v57, v78, v79
	v_dual_add_f32 v60, v81, v11 :: v_dual_add_f32 v55, v55, v42
	s_delay_alu instid0(VALU_DEP_3)
	v_dual_fmamk_f32 v23, v71, 0x3f737871, v8 :: v_dual_add_f32 v78, v38, v15
	v_fmamk_f32 v15, v59, 0x3f737871, v1
	v_dual_fmac_f32 v1, 0xbf737871, v59 :: v_dual_sub_f32 v76, v18, v42
	v_dual_sub_f32 v139, v28, v45 :: v_dual_sub_f32 v140, v45, v28
	v_dual_fmac_f32 v7, 0x3f737871, v58 :: v_dual_sub_f32 v138, v12, v44
	v_fma_f32 v4, -0.5, v129, v4
	v_fma_f32 v11, -0.5, v137, v5
	v_dual_fmac_f32 v5, -0.5, v133 :: v_dual_fmamk_f32 v12, v49, 0x3f737871, v6
	v_dual_add_f32 v45, v70, v45 :: v_dual_add_f32 v44, v67, v44
	v_fmac_f32_e32 v13, 0xbf167918, v59
	v_fmamk_f32 v14, v50, 0xbf737871, v0
	v_fmac_f32_e32 v0, 0x3f737871, v50
	v_dual_add_f32 v60, v60, v43 :: v_dual_fmac_f32 v1, 0x3f167918, v58
	v_fmac_f32_e32 v6, 0xbf737871, v49
	v_add_f32_e32 v66, v24, v87
	v_fmamk_f32 v24, v83, 0xbf737871, v9
	v_add_f32_e32 v56, v75, v76
	v_dual_add_f32 v68, v124, v125 :: v_dual_fmac_f32 v9, 0x3f737871, v83
	v_dual_add_f32 v75, v25, v139 :: v_dual_add_f32 v76, v26, v140
	v_fmamk_f32 v25, v74, 0xbf737871, v2
	v_dual_fmac_f32 v2, 0x3f737871, v74 :: v_dual_fmamk_f32 v43, v138, 0x3f737871, v5
	v_fmamk_f32 v26, v84, 0x3f737871, v3
	v_fmac_f32_e32 v3, 0xbf737871, v84
	v_fmac_f32_e32 v15, 0xbf167918, v58
	v_dual_fmac_f32 v8, 0xbf737871, v71 :: v_dual_add_f32 v17, v78, v17
	v_fmac_f32_e32 v10, 0xbf737871, v122
	v_fmamk_f32 v42, v123, 0xbf737871, v4
	v_fmac_f32_e32 v4, 0x3f737871, v123
	v_fmamk_f32 v38, v132, 0xbf737871, v11
	v_fmac_f32_e32 v11, 0x3f737871, v132
	v_fmac_f32_e32 v5, 0xbf737871, v138
	v_dual_fmac_f32 v12, 0x3f167918, v50 :: v_dual_fmac_f32 v25, 0x3f167918, v71
	v_dual_fmac_f32 v0, 0xbf167918, v49 :: v_dual_add_f32 v27, v44, v27
	v_dual_fmac_f32 v14, 0x3f167918, v49 :: v_dual_fmac_f32 v23, 0x3f167918, v74
	v_dual_add_f32 v16, v77, v16 :: v_dual_fmac_f32 v7, 0x3f167918, v59
	v_dual_add_f32 v19, v60, v19 :: v_dual_fmac_f32 v6, 0xbf167918, v50
	v_fmac_f32_e32 v43, 0xbf167918, v132
	v_fmac_f32_e32 v24, 0xbf167918, v84
	v_dual_add_f32 v18, v55, v18 :: v_dual_fmac_f32 v9, 0x3f167918, v84
	v_fmac_f32_e32 v8, 0xbf167918, v74
	v_fmac_f32_e32 v2, 0xbf167918, v71
	;; [unrolled: 1-line block ×3, first 2 shown]
	v_dual_fmac_f32 v3, 0x3f167918, v83 :: v_dual_fmac_f32 v42, 0x3f167918, v122
	v_dual_fmac_f32 v37, 0x3f167918, v123 :: v_dual_add_f32 v28, v45, v28
	v_fmac_f32_e32 v10, 0xbf167918, v123
	v_fmac_f32_e32 v4, 0xbf167918, v122
	;; [unrolled: 1-line block ×5, first 2 shown]
	v_dual_fmac_f32 v12, 0x3e9e377a, v51 :: v_dual_fmac_f32 v13, 0x3e9e377a, v54
	v_dual_fmac_f32 v14, 0x3e9e377a, v52 :: v_dual_fmac_f32 v15, 0x3e9e377a, v53
	;; [unrolled: 1-line block ×12, first 2 shown]
	ds_store_2addr_b64 v91, v[16:17], v[12:13] offset1:1
	ds_store_2addr_b64 v91, v[14:15], v[0:1] offset0:2 offset1:3
	ds_store_b64 v91, v[6:7] offset:32
	ds_store_2addr_b64 v135, v[18:19], v[23:24] offset1:1
	ds_store_2addr_b64 v135, v[25:26], v[2:3] offset0:2 offset1:3
	ds_store_b64 v135, v[8:9] offset:32
	ds_store_b64 v134, v[10:11] offset:32
	ds_store_2addr_b64 v134, v[27:28], v[37:38] offset1:1
	ds_store_2addr_b64 v134, v[42:43], v[4:5] offset0:2 offset1:3
	global_wb scope:SCOPE_SE
	s_wait_dscnt 0x0
	s_barrier_signal -1
	s_barrier_wait -1
	global_inv scope:SCOPE_SE
	global_load_b128 v[12:15], v47, s[10:11]
	v_lshlrev_b32_e32 v1, 4, v21
	v_sub_nc_u16 v0, v72, v29
	global_load_b128 v[16:19], v48, s[10:11]
	v_add_co_u32 v23, s2, v126, -15
	global_load_b128 v[8:11], v1, s[10:11]
	v_and_b32_e32 v37, 0xff, v39
	v_and_b32_e32 v49, 0xff, v0
	s_wait_alu 0xf1ff
	v_add_co_ci_u32_e64 v24, null, 0, -1, s2
	s_wait_alu 0xfffd
	v_cndmask_b32_e32 v66, v23, v126, vcc_lo
	v_lshlrev_b32_e32 v0, 4, v37
	v_lshlrev_b32_e32 v1, 4, v49
	s_clause 0x1
	global_load_b128 v[4:7], v0, s[10:11]
	global_load_b128 v[0:3], v1, s[10:11]
	v_cndmask_b32_e64 v67, v24, 0, vcc_lo
	v_mul_lo_u16 v25, 0x89, v32
	v_mul_lo_u16 v26, 0x89, v33
	;; [unrolled: 1-line block ×4, first 2 shown]
	v_lshlrev_b64_e32 v[23:24], 4, v[66:67]
	v_lshrrev_b16 v44, 11, v25
	v_lshrrev_b16 v45, 11, v26
	;; [unrolled: 1-line block ×3, first 2 shown]
	v_and_b32_e32 v25, 0xffff, v34
	v_lshrrev_b16 v42, 11, v28
	v_add_co_u32 v38, vcc_lo, s10, v23
	s_wait_alu 0xfffd
	v_add_co_ci_u32_e32 v39, vcc_lo, s11, v24, vcc_lo
	v_mad_u16 v23, v30, 15, v36
	v_mul_lo_u16 v24, v31, 15
	v_mul_lo_u16 v27, v44, 15
	v_and_b32_e32 v22, 0xffff, v22
	v_mul_lo_u16 v28, v45, 15
	v_and_b32_e32 v23, 0xff, v23
	v_and_b32_e32 v24, 0xff, v24
	v_mul_u32_u24_e32 v30, 15, v25
	v_sub_nc_u16 v25, v65, v27
	v_and_b32_e32 v26, 0xffff, v35
	v_mul_lo_u16 v29, v43, 15
	v_sub_nc_u16 v27, v64, v28
	v_mul_u32_u24_e32 v34, 15, v22
	v_lshl_add_u32 v133, v23, 3, v63
	v_and_b32_e32 v48, 0xff, v25
	v_add_nc_u32_e32 v20, v24, v20
	ds_load_2addr_b64 v[22:25], v127 offset0:108 offset1:135
	v_mul_u32_u24_e32 v31, 15, v26
	v_sub_nc_u16 v67, v73, v29
	v_and_b32_e32 v47, 0xff, v27
	ds_load_2addr_b64 v[26:29], v128 offset0:14 offset1:41
	v_add_nc_u32_e32 v21, v30, v21
	v_mul_lo_u16 v61, v42, 15
	v_and_b32_e32 v43, 0xffff, v43
	v_cmp_gt_u16_e32 vcc_lo, 18, v62
	s_delay_alu instid0(VALU_DEP_4) | instskip(NEXT) | instid1(VALU_DEP_3)
	v_lshl_add_u32 v131, v21, 3, v63
	v_mul_u32_u24_e32 v43, 45, v43
	s_wait_loadcnt_dscnt 0x401
	v_mul_f32_e32 v70, v24, v13
	s_wait_dscnt 0x0
	v_dual_mul_f32 v74, v26, v15 :: v_dual_add_nc_u32 v35, v31, v37
	v_add_nc_u32_e32 v49, v34, v49
	ds_load_2addr_b64 v[30:33], v127 offset0:162 offset1:189
	v_mul_f32_e32 v69, v25, v13
	v_lshl_add_u32 v129, v35, 3, v63
	ds_load_2addr_b64 v[34:37], v128 offset0:68 offset1:95
	v_lshl_add_u32 v130, v49, 3, v63
	v_mul_f32_e32 v71, v27, v15
	s_wait_loadcnt 0x3
	v_mul_f32_e32 v77, v29, v19
	v_fma_f32 v24, v24, v12, -v69
	v_fmac_f32_e32 v70, v25, v12
	v_fma_f32 v25, v26, v14, -v71
	s_wait_loadcnt_dscnt 0x201
	v_mul_f32_e32 v79, v33, v9
	v_mul_f32_e32 v75, v31, v17
	v_mul_f32_e32 v81, v32, v9
	s_wait_loadcnt_dscnt 0x100
	v_mul_f32_e32 v87, v36, v7
	v_mul_f32_e32 v82, v35, v11
	;; [unrolled: 1-line block ×4, first 2 shown]
	v_fma_f32 v26, v30, v16, -v75
	v_fmac_f32_e32 v87, v37, v6
	v_lshl_add_u32 v132, v20, 3, v63
	ds_load_2addr_b64 v[49:52], v127 offset0:216 offset1:243
	ds_load_2addr_b64 v[53:56], v127 offset1:27
	ds_load_2addr_b64 v[57:60], v127 offset0:54 offset1:81
	ds_load_b64 v[20:21], v127 offset:3024
	v_fmac_f32_e32 v74, v27, v14
	v_fma_f32 v27, v28, v18, -v77
	v_fmac_f32_e32 v81, v33, v8
	v_fmac_f32_e32 v83, v35, v10
	global_wb scope:SCOPE_SE
	s_wait_loadcnt_dscnt 0x0
	s_barrier_signal -1
	s_barrier_wait -1
	global_inv scope:SCOPE_SE
	v_mul_f32_e32 v84, v50, v5
	v_dual_mul_f32 v85, v49, v5 :: v_dual_mul_f32 v78, v28, v19
	v_mul_f32_e32 v123, v20, v3
	v_fma_f32 v28, v32, v8, -v79
	v_dual_mul_f32 v89, v52, v1 :: v_dual_lshlrev_b32 v68, 4, v48
	s_delay_alu instid0(VALU_DEP_3)
	v_dual_mul_f32 v90, v51, v1 :: v_dual_fmac_f32 v123, v21, v2
	v_fma_f32 v30, v49, v4, -v84
	v_dual_fmac_f32 v85, v50, v4 :: v_dual_fmac_f32 v78, v29, v18
	v_dual_sub_f32 v49, v24, v25 :: v_dual_mul_f32 v122, v21, v3
	v_add_f32_e32 v33, v54, v70
	v_add_f32_e32 v21, v24, v25
	v_fma_f32 v29, v34, v10, -v82
	v_add_f32_e32 v71, v57, v28
	v_dual_mul_f32 v86, v37, v7 :: v_dual_sub_f32 v37, v70, v74
	v_dual_fmac_f32 v76, v31, v16 :: v_dual_add_f32 v35, v70, v74
	v_fma_f32 v31, v51, v0, -v89
	s_delay_alu instid0(VALU_DEP_3)
	v_fma_f32 v32, v36, v6, -v86
	v_dual_fmac_f32 v90, v52, v0 :: v_dual_add_f32 v77, v58, v81
	v_fma_f32 v34, v20, v2, -v122
	v_dual_add_f32 v75, v28, v29 :: v_dual_add_f32 v20, v53, v24
	v_dual_sub_f32 v51, v76, v78 :: v_dual_add_f32 v50, v26, v27
	v_add_f32_e32 v69, v76, v78
	v_dual_add_f32 v36, v55, v26 :: v_dual_add_f32 v79, v81, v83
	v_add_f32_e32 v52, v56, v76
	v_dual_sub_f32 v76, v81, v83 :: v_dual_add_f32 v89, v60, v85
	v_dual_add_f32 v84, v30, v32 :: v_dual_add_f32 v125, v31, v34
	v_dual_sub_f32 v86, v85, v87 :: v_dual_add_f32 v137, v23, v90
	v_add_f32_e32 v85, v85, v87
	v_sub_f32_e32 v136, v90, v123
	v_add_f32_e32 v20, v20, v25
	v_fma_f32 v24, -0.5, v21, v53
	v_fma_f32 v25, -0.5, v35, v54
	v_add_f32_e32 v35, v137, v123
	v_add_f32_e32 v90, v90, v123
	v_dual_sub_f32 v70, v26, v27 :: v_dual_sub_f32 v81, v28, v29
	v_fma_f32 v55, -0.5, v50, v55
	v_fmac_f32_e32 v56, -0.5, v69
	v_add_f32_e32 v82, v59, v30
	v_dual_sub_f32 v122, v30, v32 :: v_dual_add_f32 v21, v33, v74
	v_add_f32_e32 v124, v22, v31
	v_dual_sub_f32 v138, v31, v34 :: v_dual_add_f32 v33, v89, v87
	v_fma_f32 v30, -0.5, v75, v57
	v_fma_f32 v31, -0.5, v79, v58
	v_add_f32_e32 v26, v36, v27
	v_fma_f32 v59, -0.5, v84, v59
	v_fmac_f32_e32 v60, -0.5, v85
	v_fma_f32 v22, -0.5, v125, v22
	v_fmamk_f32 v36, v37, 0x3f5db3d7, v24
	v_dual_fmac_f32 v24, 0xbf5db3d7, v37 :: v_dual_fmamk_f32 v37, v49, 0xbf5db3d7, v25
	v_fmac_f32_e32 v23, -0.5, v90
	v_fmac_f32_e32 v25, 0x3f5db3d7, v49
	v_add_f32_e32 v27, v52, v78
	v_fmamk_f32 v49, v51, 0x3f5db3d7, v55
	v_fmamk_f32 v50, v70, 0xbf5db3d7, v56
	v_dual_add_f32 v28, v71, v29 :: v_dual_fmac_f32 v55, 0xbf5db3d7, v51
	v_dual_fmac_f32 v56, 0x3f5db3d7, v70 :: v_dual_add_f32 v29, v77, v83
	v_dual_add_f32 v32, v82, v32 :: v_dual_fmamk_f32 v51, v76, 0x3f5db3d7, v30
	v_fmamk_f32 v52, v81, 0xbf5db3d7, v31
	v_dual_add_f32 v34, v124, v34 :: v_dual_fmac_f32 v31, 0x3f5db3d7, v81
	v_fmac_f32_e32 v30, 0xbf5db3d7, v76
	v_fmamk_f32 v53, v86, 0x3f5db3d7, v59
	v_dual_fmac_f32 v59, 0xbf5db3d7, v86 :: v_dual_fmamk_f32 v54, v122, 0xbf5db3d7, v60
	v_fmac_f32_e32 v60, 0x3f5db3d7, v122
	v_fmamk_f32 v57, v136, 0x3f5db3d7, v22
	v_fmac_f32_e32 v22, 0xbf5db3d7, v136
	v_fmamk_f32 v58, v138, 0xbf5db3d7, v23
	v_fmac_f32_e32 v23, 0x3f5db3d7, v138
	ds_store_2addr_b64 v133, v[20:21], v[36:37] offset1:5
	ds_store_b64 v133, v[24:25] offset:80
	ds_store_2addr_b64 v132, v[26:27], v[49:50] offset1:5
	ds_store_b64 v132, v[55:56] offset:80
	;; [unrolled: 2-line block ×5, first 2 shown]
	v_sub_nc_u16 v20, v72, v61
	v_lshlrev_b32_e32 v21, 4, v47
	v_add_co_u32 v51, s2, 0xffffffee, v126
	v_and_b32_e32 v49, 0xff, v67
	global_wb scope:SCOPE_SE
	s_wait_dscnt 0x0
	s_barrier_signal -1
	s_wait_alu 0xfffd
	v_cndmask_b32_e32 v60, v51, v65, vcc_lo
	s_barrier_wait -1
	global_inv scope:SCOPE_SE
	s_clause 0x2
	global_load_b128 v[28:31], v[38:39], off offset:80
	global_load_b128 v[36:39], v68, s[10:11] offset:80
	global_load_b128 v[32:35], v21, s[10:11] offset:80
	v_and_b32_e32 v50, 0xff, v20
	v_lshlrev_b32_e32 v20, 4, v49
	s_wait_alu 0xf1ff
	v_add_co_ci_u32_e64 v52, null, 0, -1, s2
	v_cmp_lt_u16_e64 s2, 14, v62
	v_lshlrev_b32_e32 v21, 4, v50
	s_clause 0x1
	global_load_b128 v[24:27], v20, s[10:11] offset:80
	global_load_b128 v[20:23], v21, s[10:11] offset:80
	s_wait_alu 0xf1ff
	v_cndmask_b32_e64 v53, 0, 45, s2
	v_cndmask_b32_e32 v61, v52, v41, vcc_lo
	v_mul_lo_u16 v41, 0x6d, v46
	v_mul_lo_u16 v51, 0x6d, v40
	v_and_b32_e32 v42, 0xffff, v42
	v_add_nc_u32_e32 v46, v66, v53
	v_add_nc_u32_e32 v53, v43, v49
	v_lshrrev_b16 v52, 8, v41
	v_lshlrev_b64_e32 v[40:41], 4, v[60:61]
	v_mul_u32_u24_e32 v42, 45, v42
	v_lshl_add_u32 v136, v46, 3, v63
	v_lshrrev_b16 v46, 8, v51
	v_sub_nc_u16 v51, v73, v52
	v_lshl_add_u32 v140, v53, 3, v63
	v_add_co_u32 v70, vcc_lo, s10, v40
	s_wait_alu 0xfffd
	v_add_co_ci_u32_e32 v71, vcc_lo, s11, v41, vcc_lo
	v_sub_nc_u16 v40, v72, v46
	v_and_b32_e32 v41, 0xffff, v44
	v_and_b32_e32 v44, 0xffff, v45
	v_lshrrev_b16 v45, 1, v51
	v_add_nc_u32_e32 v54, v42, v50
	v_lshrrev_b16 v40, 1, v40
	v_mul_u32_u24_e32 v41, 45, v41
	v_mul_u32_u24_e32 v44, 45, v44
	v_and_b32_e32 v45, 0x7f, v45
	v_lshl_add_u32 v138, v54, 3, v63
	v_and_b32_e32 v40, 0x7f, v40
	v_add_nc_u32_e32 v41, v41, v48
	v_lshlrev_b32_e32 v61, 4, v126
	v_add_nc_u16 v45, v45, v52
	v_add_nc_u32_e32 v52, v44, v47
	v_add_nc_u16 v40, v40, v46
	v_lshl_add_u32 v137, v41, 3, v63
	v_cmp_lt_u16_e32 vcc_lo, 17, v62
	v_lshrrev_b16 v81, 5, v45
	ds_load_2addr_b64 v[44:47], v128 offset0:14 offset1:41
	v_lshrrev_b16 v48, 5, v40
	ds_load_2addr_b64 v[40:43], v127 offset0:108 offset1:135
	v_lshl_add_u32 v139, v52, 3, v63
	v_mul_lo_u16 v55, v81, 45
	s_wait_alu 0xfffd
	v_cndmask_b32_e64 v62, 0, 0x87, vcc_lo
	v_mul_lo_u16 v56, v48, 45
	ds_load_2addr_b64 v[48:51], v127 offset0:162 offset1:189
	s_add_nc_u64 s[2:3], s[8:9], 0xca8
	v_sub_nc_u16 v57, v73, v55
	ds_load_2addr_b64 v[52:55], v128 offset0:68 offset1:95
	v_sub_nc_u16 v82, v72, v56
	v_lshlrev_b32_e32 v73, 4, v73
	v_and_b32_e32 v83, 0xff, v57
	ds_load_2addr_b64 v[56:59], v127 offset0:216 offset1:243
	ds_load_2addr_b64 v[66:69], v127 offset1:27
	ds_load_2addr_b64 v[74:77], v127 offset0:54 offset1:81
	ds_load_b64 v[78:79], v127 offset:3024
	global_wb scope:SCOPE_SE
	s_wait_loadcnt_dscnt 0x0
	s_barrier_signal -1
	s_barrier_wait -1
	global_inv scope:SCOPE_SE
	v_mul_f32_e32 v86, v45, v31
	v_mul_f32_e32 v84, v43, v29
	;; [unrolled: 1-line block ×7, first 2 shown]
	v_dual_mul_f32 v123, v46, v39 :: v_dual_mul_f32 v124, v51, v33
	v_fmac_f32_e32 v87, v45, v30
	v_dual_mul_f32 v125, v50, v33 :: v_dual_mul_f32 v142, v52, v35
	s_delay_alu instid0(VALU_DEP_3) | instskip(SKIP_2) | instid1(VALU_DEP_4)
	v_fmac_f32_e32 v123, v47, v38
	v_mul_f32_e32 v143, v57, v25
	v_dual_mul_f32 v144, v56, v25 :: v_dual_mul_f32 v149, v79, v23
	v_dual_mul_f32 v146, v54, v27 :: v_dual_fmac_f32 v125, v51, v32
	v_mul_f32_e32 v147, v59, v21
	v_dual_mul_f32 v148, v58, v21 :: v_dual_fmac_f32 v85, v43, v28
	v_fma_f32 v42, v42, v28, -v84
	v_mul_f32_e32 v141, v53, v35
	v_mul_f32_e32 v145, v55, v27
	v_fma_f32 v44, v44, v30, -v86
	v_fma_f32 v46, v46, v38, -v122
	;; [unrolled: 1-line block ×3, first 2 shown]
	v_mul_f32_e32 v150, v78, v23
	v_dual_fmac_f32 v90, v49, v36 :: v_dual_add_f32 v51, v66, v42
	v_fma_f32 v47, v50, v32, -v124
	v_dual_fmac_f32 v142, v53, v34 :: v_dual_add_f32 v53, v42, v44
	v_fmac_f32_e32 v146, v55, v26
	v_fma_f32 v43, v56, v24, -v143
	v_fmac_f32_e32 v144, v57, v24
	v_fma_f32 v49, v58, v20, -v147
	v_dual_fmac_f32 v148, v59, v20 :: v_dual_add_f32 v55, v85, v87
	v_fma_f32 v48, v52, v34, -v141
	v_fma_f32 v50, v54, v26, -v145
	;; [unrolled: 1-line block ×3, first 2 shown]
	v_dual_sub_f32 v57, v85, v87 :: v_dual_add_f32 v56, v68, v45
	v_add_f32_e32 v59, v45, v46
	v_fmac_f32_e32 v150, v79, v22
	v_dual_add_f32 v78, v69, v90 :: v_dual_add_f32 v145, v76, v43
	v_sub_f32_e32 v79, v90, v123
	v_dual_add_f32 v84, v90, v123 :: v_dual_sub_f32 v143, v144, v146
	v_dual_add_f32 v86, v74, v47 :: v_dual_add_f32 v147, v43, v50
	v_dual_sub_f32 v90, v125, v142 :: v_dual_add_f32 v153, v40, v49
	v_dual_add_f32 v141, v77, v144 :: v_dual_add_f32 v144, v144, v146
	v_dual_add_f32 v151, v41, v148 :: v_dual_add_f32 v54, v67, v85
	v_sub_f32_e32 v89, v45, v46
	v_add_f32_e32 v122, v125, v142
	v_dual_add_f32 v124, v47, v48 :: v_dual_add_f32 v45, v78, v123
	v_dual_sub_f32 v58, v42, v44 :: v_dual_add_f32 v85, v75, v125
	v_sub_f32_e32 v125, v47, v48
	v_dual_sub_f32 v149, v43, v50 :: v_dual_add_f32 v154, v49, v52
	v_dual_sub_f32 v152, v148, v150 :: v_dual_sub_f32 v155, v49, v52
	v_dual_add_f32 v148, v148, v150 :: v_dual_fmac_f32 v69, -0.5, v84
	v_dual_add_f32 v42, v51, v44 :: v_dual_add_f32 v47, v85, v142
	v_dual_add_f32 v44, v56, v46 :: v_dual_fmac_f32 v77, -0.5, v144
	v_dual_add_f32 v46, v86, v48 :: v_dual_add_f32 v49, v141, v146
	s_delay_alu instid0(VALU_DEP_4)
	v_dual_add_f32 v48, v145, v50 :: v_dual_fmac_f32 v41, -0.5, v148
	v_dual_add_f32 v51, v151, v150 :: v_dual_add_f32 v50, v153, v52
	v_fma_f32 v52, -0.5, v53, v66
	v_fma_f32 v53, -0.5, v55, v67
	;; [unrolled: 1-line block ×3, first 2 shown]
	v_add_f32_e32 v43, v54, v87
	v_fma_f32 v54, -0.5, v124, v74
	v_fma_f32 v55, -0.5, v122, v75
	;; [unrolled: 1-line block ×4, first 2 shown]
	v_fmamk_f32 v56, v57, 0x3f5db3d7, v52
	v_dual_fmac_f32 v52, 0xbf5db3d7, v57 :: v_dual_fmamk_f32 v57, v58, 0xbf5db3d7, v53
	v_dual_fmac_f32 v53, 0x3f5db3d7, v58 :: v_dual_fmamk_f32 v58, v79, 0x3f5db3d7, v68
	;; [unrolled: 1-line block ×9, first 2 shown]
	v_fmac_f32_e32 v41, 0x3f5db3d7, v155
	ds_store_2addr_b64 v136, v[42:43], v[56:57] offset1:15
	ds_store_b64 v136, v[52:53] offset:240
	ds_store_2addr_b64 v137, v[44:45], v[58:59] offset1:15
	ds_store_b64 v137, v[68:69] offset:240
	ds_store_2addr_b64 v139, v[46:47], v[66:67] offset1:15
	ds_store_b64 v139, v[54:55] offset:240
	ds_store_2addr_b64 v140, v[48:49], v[74:75] offset1:15
	ds_store_b64 v140, v[76:77] offset:240
	ds_store_2addr_b64 v138, v[50:51], v[78:79] offset1:15
	ds_store_b64 v138, v[40:41] offset:240
	global_wb scope:SCOPE_SE
	s_wait_dscnt 0x0
	s_barrier_signal -1
	s_barrier_wait -1
	global_inv scope:SCOPE_SE
	s_clause 0x2
	global_load_b128 v[56:59], v61, s[10:11] offset:320
	global_load_b128 v[52:55], v[70:71], off offset:320
	global_load_b128 v[48:51], v61, s[10:11] offset:464
	v_and_b32_e32 v70, 0xff, v82
	v_lshlrev_b32_e32 v40, 4, v83
	v_and_b32_e32 v66, 0xffff, v81
	s_delay_alu instid0(VALU_DEP_3)
	v_lshlrev_b32_e32 v41, 4, v70
	s_clause 0x1
	global_load_b128 v[44:47], v40, s[10:11] offset:320
	global_load_b128 v[40:43], v41, s[10:11] offset:320
	v_mul_u32_u24_e32 v71, 0x87, v66
	ds_load_2addr_b64 v[66:69], v128 offset0:14 offset1:41
	ds_load_2addr_b64 v[74:77], v127 offset0:162 offset1:189
	v_add_nc_u32_e32 v60, v60, v62
	v_lshlrev_b32_e32 v87, 4, v65
	v_add_nc_u32_e32 v62, v71, v83
	ds_load_2addr_b64 v[81:84], v128 offset0:68 offset1:95
	v_lshl_add_u32 v142, v62, 3, v63
	s_wait_loadcnt_dscnt 0x402
	v_mul_f32_e32 v65, v66, v59
	v_lshl_add_u32 v141, v70, 3, v63
	s_wait_loadcnt_dscnt 0x201
	v_mul_f32_e32 v85, v77, v49
	v_lshl_add_u32 v143, v60, 3, v63
	ds_load_2addr_b64 v[122:125], v127 offset0:216 offset1:243
	ds_load_2addr_b64 v[145:148], v127 offset0:108 offset1:135
	ds_load_2addr_b64 v[149:152], v127 offset1:27
	ds_load_b64 v[62:63], v127 offset:3024
	ds_load_2addr_b64 v[153:156], v127 offset0:54 offset1:81
	v_mul_f32_e32 v78, v69, v55
	v_dual_mul_f32 v60, v67, v59 :: v_dual_mul_f32 v71, v74, v53
	v_dual_mul_f32 v79, v68, v55 :: v_dual_add_nc_u32 v144, 0x800, v141
	s_wait_dscnt 0x5
	v_mul_f32_e32 v89, v82, v51
	s_wait_loadcnt 0x1
	v_mul_f32_e32 v158, v83, v47
	v_dual_mul_f32 v70, v75, v53 :: v_dual_mul_f32 v157, v84, v47
	v_dual_mul_f32 v86, v76, v49 :: v_dual_fmac_f32 v65, v67, v58
	v_fma_f32 v67, v68, v54, -v78
	v_fma_f32 v68, v76, v48, -v85
	v_mul_f32_e32 v90, v81, v51
	v_fma_f32 v60, v66, v58, -v60
	s_wait_dscnt 0x4
	v_mul_f32_e32 v159, v123, v45
	s_wait_dscnt 0x3
	v_mul_f32_e32 v163, v148, v57
	v_mul_f32_e32 v160, v122, v45
	s_wait_loadcnt 0x0
	v_mul_f32_e32 v161, v125, v41
	v_dual_mul_f32 v162, v124, v41 :: v_dual_fmac_f32 v79, v69, v54
	v_fma_f32 v76, v147, v56, -v163
	v_mul_f32_e32 v164, v147, v57
	s_wait_dscnt 0x1
	v_dual_mul_f32 v166, v62, v43 :: v_dual_fmac_f32 v71, v75, v52
	v_mul_f32_e32 v165, v63, v43
	v_fma_f32 v66, v74, v52, -v70
	v_fma_f32 v69, v81, v50, -v89
	v_add_f32_e32 v81, v149, v76
	v_fmac_f32_e32 v164, v148, v56
	v_fmac_f32_e32 v90, v82, v50
	v_fma_f32 v74, v83, v46, -v157
	v_dual_fmac_f32 v158, v84, v46 :: v_dual_sub_f32 v85, v71, v79
	v_fma_f32 v70, v122, v44, -v159
	v_fma_f32 v75, v124, v40, -v161
	v_add_f32_e32 v82, v76, v60
	v_sub_f32_e32 v84, v76, v60
	v_add_f32_e32 v76, v152, v71
	v_dual_add_f32 v71, v71, v79 :: v_dual_fmac_f32 v86, v77, v48
	v_dual_sub_f32 v83, v164, v65 :: v_dual_fmac_f32 v160, v123, v44
	v_dual_sub_f32 v123, v66, v67 :: v_dual_fmac_f32 v162, v125, v40
	v_add_f32_e32 v89, v151, v66
	v_fma_f32 v78, v62, v42, -v165
	s_wait_dscnt 0x0
	v_dual_fmac_f32 v166, v63, v42 :: v_dual_add_f32 v125, v153, v68
	v_dual_add_f32 v62, v150, v164 :: v_dual_sub_f32 v157, v68, v69
	v_dual_add_f32 v77, v164, v65 :: v_dual_add_f32 v122, v66, v67
	v_dual_add_f32 v159, v156, v160 :: v_dual_add_f32 v124, v154, v86
	v_add_f32_e32 v169, v145, v75
	v_sub_f32_e32 v147, v86, v90
	v_dual_add_f32 v86, v86, v90 :: v_dual_add_f32 v67, v89, v67
	v_dual_add_f32 v148, v68, v69 :: v_dual_add_f32 v167, v146, v162
	;; [unrolled: 1-line block ×3, first 2 shown]
	v_sub_f32_e32 v161, v160, v158
	v_dual_add_f32 v160, v160, v158 :: v_dual_add_f32 v63, v62, v65
	v_fma_f32 v65, -0.5, v82, v149
	v_sub_f32_e32 v168, v162, v166
	v_add_f32_e32 v162, v162, v166
	v_fma_f32 v66, -0.5, v77, v150
	v_fma_f32 v151, -0.5, v122, v151
	v_add_f32_e32 v170, v75, v78
	v_dual_fmac_f32 v152, -0.5, v71 :: v_dual_add_f32 v163, v155, v70
	v_sub_f32_e32 v165, v70, v74
	v_dual_sub_f32 v171, v75, v78 :: v_dual_add_f32 v68, v76, v79
	v_add_f32_e32 v76, v169, v78
	v_fma_f32 v78, -0.5, v148, v153
	v_fma_f32 v79, -0.5, v86, v154
	;; [unrolled: 1-line block ×3, first 2 shown]
	v_dual_add_f32 v62, v81, v60 :: v_dual_add_f32 v77, v167, v166
	v_dual_fmac_f32 v156, -0.5, v160 :: v_dual_fmamk_f32 v81, v83, 0x3f5db3d7, v65
	v_dual_fmamk_f32 v82, v84, 0xbf5db3d7, v66 :: v_dual_fmac_f32 v65, 0xbf5db3d7, v83
	s_delay_alu instid0(VALU_DEP_4)
	v_dual_fmac_f32 v146, -0.5, v162 :: v_dual_fmamk_f32 v89, v161, 0x3f5db3d7, v155
	v_fmamk_f32 v83, v85, 0x3f5db3d7, v151
	v_fma_f32 v145, -0.5, v170, v145
	v_dual_fmac_f32 v66, 0x3f5db3d7, v84 :: v_dual_add_f32 v75, v159, v158
	v_fmamk_f32 v84, v123, 0xbf5db3d7, v152
	v_lshlrev_b32_e32 v60, 4, v64
	v_dual_add_f32 v70, v124, v90 :: v_dual_fmac_f32 v151, 0xbf5db3d7, v85
	v_fmac_f32_e32 v152, 0x3f5db3d7, v123
	v_fmamk_f32 v85, v147, 0x3f5db3d7, v78
	v_dual_fmamk_f32 v86, v157, 0xbf5db3d7, v79 :: v_dual_fmamk_f32 v123, v171, 0xbf5db3d7, v146
	global_wb scope:SCOPE_SE
	s_barrier_signal -1
	s_barrier_wait -1
	global_inv scope:SCOPE_SE
	v_dual_add_f32 v74, v163, v74 :: v_dual_fmac_f32 v79, 0x3f5db3d7, v157
	v_dual_fmac_f32 v78, 0xbf5db3d7, v147 :: v_dual_fmac_f32 v155, 0xbf5db3d7, v161
	v_fmamk_f32 v90, v165, 0xbf5db3d7, v156
	v_fmac_f32_e32 v156, 0x3f5db3d7, v165
	v_fmamk_f32 v122, v168, 0x3f5db3d7, v145
	v_fmac_f32_e32 v145, 0xbf5db3d7, v168
	v_fmac_f32_e32 v146, 0x3f5db3d7, v171
	ds_store_2addr_b64 v127, v[62:63], v[81:82] offset1:45
	ds_store_b64 v127, v[65:66] offset:720
	ds_store_2addr_b64 v143, v[67:68], v[83:84] offset1:45
	ds_store_b64 v143, v[151:152] offset:720
	ds_store_2addr_b64 v127, v[69:70], v[85:86] offset0:144 offset1:189
	ds_store_b64 v127, v[78:79] offset:1872
	ds_store_2addr_b64 v142, v[74:75], v[89:90] offset1:45
	ds_store_b64 v142, v[155:156] offset:720
	ds_store_2addr_b64 v144, v[76:77], v[122:123] offset0:14 offset1:59
	ds_store_b64 v141, v[145:146] offset:2880
	global_wb scope:SCOPE_SE
	s_wait_dscnt 0x0
	s_barrier_signal -1
	s_barrier_wait -1
	global_inv scope:SCOPE_SE
	s_clause 0x2
	global_load_b128 v[68:71], v61, s[10:11] offset:1040
	global_load_b128 v[64:67], v87, s[10:11] offset:1040
	;; [unrolled: 1-line block ×3, first 2 shown]
	v_lshlrev_b32_e32 v76, 4, v72
	s_clause 0x1
	global_load_b128 v[72:75], v73, s[10:11] offset:1040
	global_load_b128 v[76:79], v76, s[10:11] offset:1040
	ds_load_2addr_b64 v[81:84], v128 offset0:14 offset1:41
	ds_load_2addr_b64 v[122:125], v127 offset0:162 offset1:189
	;; [unrolled: 1-line block ×5, first 2 shown]
	ds_load_2addr_b64 v[157:160], v127 offset1:27
	ds_load_b64 v[85:86], v127 offset:3024
	ds_load_2addr_b64 v[161:164], v127 offset0:54 offset1:81
	s_wait_loadcnt_dscnt 0x407
	v_mul_f32_e32 v87, v82, v71
	v_mul_f32_e32 v89, v81, v71
	s_wait_loadcnt 0x3
	v_mul_f32_e32 v165, v83, v67
	s_wait_dscnt 0x6
	v_mul_f32_e32 v167, v122, v65
	s_wait_dscnt 0x5
	v_mul_f32_e32 v170, v148, v69
	v_dual_mul_f32 v171, v147, v69 :: v_dual_mul_f32 v90, v84, v67
	s_wait_loadcnt_dscnt 0x103
	v_mul_f32_e32 v177, v153, v73
	s_wait_loadcnt_dscnt 0x1
	v_dual_mul_f32 v166, v123, v65 :: v_dual_mul_f32 v181, v85, v79
	v_dual_mul_f32 v168, v125, v61 :: v_dual_fmac_f32 v89, v82, v70
	v_dual_mul_f32 v169, v124, v61 :: v_dual_mul_f32 v172, v150, v63
	v_mul_f32_e32 v179, v155, v77
	v_mul_f32_e32 v173, v149, v63
	s_delay_alu instid0(VALU_DEP_3) | instskip(SKIP_2) | instid1(VALU_DEP_4)
	v_dual_mul_f32 v174, v152, v75 :: v_dual_fmac_f32 v169, v125, v60
	v_dual_mul_f32 v175, v151, v75 :: v_dual_mul_f32 v176, v154, v73
	v_fmac_f32_e32 v165, v84, v66
	v_dual_mul_f32 v178, v156, v77 :: v_dual_fmac_f32 v173, v150, v62
	v_dual_mul_f32 v180, v86, v79 :: v_dual_fmac_f32 v171, v148, v68
	v_fma_f32 v81, v81, v70, -v87
	v_fmac_f32_e32 v167, v123, v64
	v_fma_f32 v84, v147, v68, -v170
	v_fma_f32 v87, v83, v66, -v90
	v_fma_f32 v82, v122, v64, -v166
	v_fma_f32 v83, v124, v60, -v168
	v_fma_f32 v122, v149, v62, -v172
	v_fma_f32 v124, v151, v74, -v174
	v_dual_fmac_f32 v175, v152, v74 :: v_dual_sub_f32 v150, v171, v89
	v_fma_f32 v90, v153, v72, -v176
	v_fmac_f32_e32 v177, v154, v72
	v_fma_f32 v123, v155, v76, -v178
	v_dual_fmac_f32 v179, v156, v76 :: v_dual_add_f32 v154, v167, v165
	v_fma_f32 v147, v85, v78, -v180
	v_dual_fmac_f32 v181, v86, v78 :: v_dual_add_f32 v148, v84, v81
	v_dual_add_f32 v86, v171, v89 :: v_dual_add_f32 v85, v158, v171
	v_dual_add_f32 v166, v83, v122 :: v_dual_add_f32 v125, v157, v84
	v_dual_add_f32 v152, v160, v167 :: v_dual_sub_f32 v153, v167, v165
	v_sub_f32_e32 v176, v177, v175
	v_dual_add_f32 v155, v82, v87 :: v_dual_sub_f32 v170, v83, v122
	s_wait_dscnt 0x0
	v_dual_add_f32 v167, v169, v173 :: v_dual_add_f32 v172, v163, v90
	v_dual_sub_f32 v151, v84, v81 :: v_dual_sub_f32 v156, v82, v87
	v_dual_add_f32 v149, v159, v82 :: v_dual_sub_f32 v168, v169, v173
	v_dual_add_f32 v171, v161, v83 :: v_dual_add_f32 v174, v164, v177
	v_dual_add_f32 v177, v177, v175 :: v_dual_add_f32 v178, v90, v124
	v_sub_f32_e32 v180, v90, v124
	v_dual_add_f32 v183, v146, v179 :: v_dual_sub_f32 v184, v179, v181
	v_add_f32_e32 v179, v179, v181
	v_dual_add_f32 v185, v123, v147 :: v_dual_add_f32 v82, v85, v89
	v_fma_f32 v83, -0.5, v148, v157
	v_fma_f32 v84, -0.5, v86, v158
	v_dual_add_f32 v169, v162, v169 :: v_dual_add_f32 v182, v145, v123
	v_fma_f32 v159, -0.5, v155, v159
	v_fmac_f32_e32 v160, -0.5, v154
	v_fma_f32 v89, -0.5, v166, v161
	v_fma_f32 v90, -0.5, v167, v162
	v_dual_sub_f32 v186, v123, v147 :: v_dual_add_f32 v81, v125, v81
	v_dual_add_f32 v85, v149, v87 :: v_dual_add_f32 v86, v152, v165
	v_fma_f32 v163, -0.5, v178, v163
	v_dual_fmac_f32 v164, -0.5, v177 :: v_dual_fmamk_f32 v149, v150, 0x3f5db3d7, v83
	v_dual_add_f32 v148, v183, v181 :: v_dual_fmac_f32 v83, 0xbf5db3d7, v150
	v_fma_f32 v145, -0.5, v185, v145
	v_fmac_f32_e32 v146, -0.5, v179
	v_fmamk_f32 v150, v151, 0xbf5db3d7, v84
	v_dual_fmac_f32 v84, 0x3f5db3d7, v151 :: v_dual_add_f32 v123, v169, v173
	v_fmamk_f32 v151, v153, 0x3f5db3d7, v159
	v_fmac_f32_e32 v159, 0xbf5db3d7, v153
	v_fmamk_f32 v153, v168, 0x3f5db3d7, v89
	v_dual_fmamk_f32 v152, v156, 0xbf5db3d7, v160 :: v_dual_fmac_f32 v89, 0xbf5db3d7, v168
	v_dual_fmac_f32 v160, 0x3f5db3d7, v156 :: v_dual_fmamk_f32 v155, v176, 0x3f5db3d7, v163
	v_dual_fmamk_f32 v154, v170, 0xbf5db3d7, v90 :: v_dual_fmac_f32 v163, 0xbf5db3d7, v176
	v_dual_fmac_f32 v90, 0x3f5db3d7, v170 :: v_dual_fmamk_f32 v157, v184, 0x3f5db3d7, v145
	v_dual_add_f32 v122, v171, v122 :: v_dual_add_f32 v125, v174, v175
	v_dual_add_f32 v124, v172, v124 :: v_dual_add_f32 v147, v182, v147
	v_dual_fmamk_f32 v156, v180, 0xbf5db3d7, v164 :: v_dual_fmac_f32 v145, 0xbf5db3d7, v184
	v_fmac_f32_e32 v164, 0x3f5db3d7, v180
	v_fmamk_f32 v158, v186, 0xbf5db3d7, v146
	v_fmac_f32_e32 v146, 0x3f5db3d7, v186
	ds_store_b64 v127, v[149:150] offset:1080
	ds_store_b64 v127, v[83:84] offset:2160
	ds_store_2addr_b64 v127, v[81:82], v[85:86] offset1:27
	ds_store_2addr_b64 v128, v[159:160], v[89:90] offset0:41 offset1:68
	ds_store_2addr_b64 v127, v[151:152], v[153:154] offset0:162 offset1:189
	;; [unrolled: 1-line block ×3, first 2 shown]
	ds_store_b64 v127, v[163:164] offset:2808
	ds_store_b64 v127, v[147:148] offset:864
	ds_store_2addr_b64 v127, v[155:156], v[157:158] offset0:216 offset1:243
	ds_store_b64 v127, v[145:146] offset:3024
	global_wb scope:SCOPE_SE
	s_wait_dscnt 0x0
	s_barrier_signal -1
	s_barrier_wait -1
	global_inv scope:SCOPE_SE
	s_clause 0xe
	global_load_b64 v[89:90], v80, s[8:9] offset:3240
	global_load_b64 v[153:154], v80, s[2:3] offset:216
	global_load_b64 v[155:156], v80, s[2:3] offset:1296
	global_load_b64 v[157:158], v80, s[2:3] offset:1512
	global_load_b64 v[159:160], v80, s[2:3] offset:2592
	global_load_b64 v[161:162], v80, s[2:3] offset:2808
	global_load_b64 v[163:164], v80, s[2:3] offset:648
	global_load_b64 v[165:166], v80, s[2:3] offset:432
	global_load_b64 v[167:168], v80, s[2:3] offset:864
	global_load_b64 v[169:170], v80, s[2:3] offset:1728
	global_load_b64 v[171:172], v80, s[2:3] offset:1080
	global_load_b64 v[173:174], v80, s[2:3] offset:1944
	global_load_b64 v[175:176], v80, s[2:3] offset:2160
	global_load_b64 v[177:178], v80, s[2:3] offset:2376
	global_load_b64 v[179:180], v80, s[2:3] offset:3024
	ds_load_2addr_b64 v[80:83], v127 offset1:27
	ds_load_2addr_b64 v[84:87], v127 offset0:162 offset1:189
	ds_load_2addr_b64 v[122:125], v128 offset0:68 offset1:95
	;; [unrolled: 1-line block ×4, first 2 shown]
	s_load_b64 s[2:3], s[0:1], 0x38
	s_mul_u64 s[0:1], s[4:5], 0x288
	s_wait_loadcnt_dscnt 0xc03
	v_dual_mul_f32 v183, v83, v154 :: v_dual_mul_f32 v184, v85, v156
	v_mul_f32_e32 v181, v81, v90
	v_mul_f32_e32 v182, v80, v90
	;; [unrolled: 1-line block ×3, first 2 shown]
	s_delay_alu instid0(VALU_DEP_3) | instskip(NEXT) | instid1(VALU_DEP_3)
	v_fma_f32 v181, v80, v89, -v181
	v_fmac_f32_e32 v182, v81, v89
	v_fma_f32 v89, v82, v153, -v183
	s_delay_alu instid0(VALU_DEP_4)
	v_fmac_f32_e32 v90, v83, v153
	ds_load_2addr_b64 v[80:83], v127 offset0:216 offset1:243
	s_wait_loadcnt 0xb
	v_dual_mul_f32 v154, v84, v156 :: v_dual_mul_f32 v183, v87, v158
	v_mul_f32_e32 v156, v86, v158
	v_fma_f32 v153, v84, v155, -v184
	s_wait_loadcnt_dscnt 0xa03
	v_mul_f32_e32 v184, v123, v160
	v_mul_f32_e32 v158, v122, v160
	s_wait_loadcnt 0x9
	v_mul_f32_e32 v160, v124, v162
	v_fmac_f32_e32 v154, v85, v155
	v_fma_f32 v155, v86, v157, -v183
	v_dual_mul_f32 v183, v125, v162 :: v_dual_fmac_f32 v158, v123, v159
	s_wait_loadcnt_dscnt 0x802
	v_dual_fmac_f32 v160, v125, v161 :: v_dual_mul_f32 v125, v147, v164
	s_wait_loadcnt 0x7
	s_delay_alu instid0(VALU_DEP_1)
	v_dual_mul_f32 v162, v145, v166 :: v_dual_fmac_f32 v125, v148, v163
	v_fmac_f32_e32 v156, v87, v157
	v_fma_f32 v157, v122, v159, -v184
	ds_load_b64 v[122:123], v127 offset:3024
	ds_load_2addr_b64 v[84:87], v128 offset0:14 offset1:41
	v_mul_f32_e32 v184, v148, v164
	v_fma_f32 v159, v124, v161, -v183
	s_wait_loadcnt_dscnt 0x403
	v_dual_mul_f32 v161, v146, v166 :: v_dual_mul_f32 v164, v151, v172
	v_mul_f32_e32 v183, v150, v168
	v_fma_f32 v124, v147, v163, -v184
	v_mul_f32_e32 v147, v149, v168
	v_mul_f32_e32 v148, v152, v172
	v_fma_f32 v161, v145, v165, -v161
	s_wait_loadcnt_dscnt 0x302
	v_mul_f32_e32 v145, v83, v174
	v_mul_f32_e32 v166, v82, v174
	;; [unrolled: 1-line block ×4, first 2 shown]
	v_fmac_f32_e32 v164, v152, v171
	v_fmac_f32_e32 v162, v146, v165
	v_fma_f32 v146, v149, v167, -v183
	v_fmac_f32_e32 v147, v150, v167
	v_fma_f32 v163, v151, v171, -v148
	s_wait_loadcnt_dscnt 0x1
	v_mul_f32_e32 v152, v123, v180
	v_mul_f32_e32 v170, v122, v180
	s_wait_dscnt 0x0
	v_mul_f32_e32 v174, v85, v176
	v_dual_mul_f32 v149, v84, v176 :: v_dual_mul_f32 v150, v87, v178
	v_mul_f32_e32 v151, v86, v178
	v_fma_f32 v165, v82, v173, -v145
	v_fmac_f32_e32 v166, v83, v173
	v_fma_f32 v167, v80, v169, -v172
	v_fmac_f32_e32 v168, v81, v169
	v_fma_f32 v169, v122, v179, -v152
	v_fmac_f32_e32 v170, v123, v179
	v_fma_f32 v148, v84, v175, -v174
	v_fmac_f32_e32 v149, v85, v175
	v_fma_f32 v150, v86, v177, -v150
	v_fmac_f32_e32 v151, v87, v177
	ds_store_2addr_b64 v127, v[181:182], v[89:90] offset1:27
	ds_store_2addr_b64 v127, v[153:154], v[155:156] offset0:162 offset1:189
	ds_store_2addr_b64 v128, v[157:158], v[159:160] offset0:68 offset1:95
	;; [unrolled: 1-line block ×6, first 2 shown]
	ds_store_b64 v127, v[169:170] offset:3024
	global_wb scope:SCOPE_SE
	s_wait_dscnt 0x0
	s_wait_kmcnt 0x0
	s_barrier_signal -1
	s_barrier_wait -1
	global_inv scope:SCOPE_SE
	ds_load_2addr_b64 v[80:83], v127 offset0:54 offset1:81
	ds_load_2addr_b64 v[162:165], v127 offset0:162 offset1:189
	;; [unrolled: 1-line block ×4, first 2 shown]
	ds_load_2addr_b64 v[84:87], v127 offset1:27
	ds_load_2addr_b64 v[174:177], v128 offset0:14 offset1:41
	ds_load_2addr_b64 v[178:181], v127 offset0:108 offset1:135
	s_wait_dscnt 0x5
	v_dual_sub_f32 v158, v163, v83 :: v_dual_sub_f32 v125, v82, v162
	s_wait_dscnt 0x3
	v_add_f32_e32 v157, v83, v171
	s_wait_dscnt 0x2
	v_dual_add_f32 v89, v84, v82 :: v_dual_add_f32 v90, v85, v83
	v_sub_f32_e32 v147, v83, v171
	v_add_f32_e32 v151, v162, v168
	v_add_f32_e32 v153, v163, v169
	s_delay_alu instid0(VALU_DEP_4) | instskip(SKIP_2) | instid1(VALU_DEP_3)
	v_add_f32_e32 v89, v89, v162
	v_dual_sub_f32 v145, v163, v169 :: v_dual_sub_f32 v146, v162, v168
	v_add_f32_e32 v155, v82, v170
	v_dual_sub_f32 v148, v82, v170 :: v_dual_add_f32 v89, v89, v168
	v_sub_f32_e32 v154, v83, v163
	s_wait_dscnt 0x0
	v_dual_add_f32 v83, v87, v179 :: v_dual_sub_f32 v150, v162, v82
	v_dual_add_f32 v82, v86, v178 :: v_dual_add_f32 v123, v80, v180
	s_delay_alu instid0(VALU_DEP_2) | instskip(SKIP_1) | instid1(VALU_DEP_3)
	v_dual_sub_f32 v160, v165, v175 :: v_dual_add_f32 v83, v83, v165
	v_dual_sub_f32 v152, v168, v170 :: v_dual_sub_f32 v149, v170, v168
	v_add_f32_e32 v123, v123, v166
	v_sub_f32_e32 v159, v169, v171
	s_delay_alu instid0(VALU_DEP_4) | instskip(SKIP_1) | instid1(VALU_DEP_4)
	v_dual_add_f32 v83, v83, v175 :: v_dual_add_f32 v82, v82, v164
	v_dual_add_f32 v89, v89, v170 :: v_dual_sub_f32 v170, v179, v173
	v_add_f32_e32 v192, v123, v176
	s_delay_alu instid0(VALU_DEP_3)
	v_dual_add_f32 v83, v83, v173 :: v_dual_add_f32 v90, v90, v163
	v_add_f32_e32 v191, v167, v177
	ds_load_b64 v[162:163], v127 offset:3024
	v_add_f32_e32 v122, v81, v181
	v_add_f32_e32 v196, v150, v152
	v_fma_f32 v150, -0.5, v153, v85
	v_fma_f32 v85, -0.5, v157, v85
	v_sub_f32_e32 v156, v171, v169
	v_add_f32_e32 v182, v164, v174
	v_dual_sub_f32 v184, v164, v178 :: v_dual_add_f32 v185, v165, v175
	v_dual_sub_f32 v186, v165, v179 :: v_dual_sub_f32 v189, v180, v166
	v_sub_f32_e32 v161, v164, v174
	v_dual_sub_f32 v187, v178, v164 :: v_dual_sub_f32 v164, v179, v165
	v_add_f32_e32 v82, v82, v174
	v_add_f32_e32 v168, v179, v173
	;; [unrolled: 1-line block ×3, first 2 shown]
	v_sub_f32_e32 v169, v175, v173
	v_sub_f32_e32 v173, v173, v175
	v_add_f32_e32 v183, v178, v172
	s_wait_dscnt 0x0
	v_dual_add_f32 v179, v180, v162 :: v_dual_sub_f32 v188, v181, v163
	v_add_f32_e32 v198, v158, v159
	v_fmamk_f32 v158, v146, 0xbf737871, v85
	v_dual_fmac_f32 v85, 0x3f737871, v146 :: v_dual_add_f32 v122, v122, v167
	v_sub_f32_e32 v165, v174, v172
	v_add_f32_e32 v82, v82, v172
	v_fma_f32 v152, -0.5, v185, v87
	v_dual_fmac_f32 v87, -0.5, v168 :: v_dual_add_f32 v90, v90, v171
	v_sub_f32_e32 v171, v178, v172
	v_dual_fmac_f32 v85, 0xbf167918, v148 :: v_dual_sub_f32 v172, v172, v174
	v_add_f32_e32 v193, v122, v177
	v_mad_co_u64_u32 v[122:123], null, s6, v88, 0
	v_dual_sub_f32 v175, v167, v181 :: v_dual_sub_f32 v194, v177, v163
	v_dual_add_f32 v174, v181, v163 :: v_dual_sub_f32 v195, v162, v176
	v_sub_f32_e32 v181, v181, v167
	v_sub_f32_e32 v167, v167, v177
	v_mad_co_u64_u32 v[123:124], null, s7, v88, v[123:124]
	v_add_f32_e32 v88, v125, v149
	v_fma_f32 v149, -0.5, v151, v84
	v_fma_f32 v84, -0.5, v155, v84
	v_add_f32_e32 v190, v166, v176
	v_sub_f32_e32 v178, v180, v162
	v_sub_f32_e32 v180, v166, v180
	v_fma_f32 v151, -0.5, v182, v86
	v_dual_fmamk_f32 v157, v145, 0x3f737871, v84 :: v_dual_sub_f32 v166, v166, v176
	v_sub_f32_e32 v176, v176, v162
	v_dual_add_f32 v155, v192, v162 :: v_dual_fmamk_f32 v162, v147, 0xbf737871, v149
	v_fmac_f32_e32 v149, 0x3f737871, v147
	v_fma_f32 v153, -0.5, v190, v80
	v_sub_f32_e32 v177, v163, v177
	v_add_f32_e32 v197, v154, v156
	v_fma_f32 v86, -0.5, v183, v86
	v_fma_f32 v154, -0.5, v191, v81
	v_dual_add_f32 v156, v193, v163 :: v_dual_fmamk_f32 v163, v148, 0x3f737871, v150
	v_fmac_f32_e32 v150, 0xbf737871, v148
	v_fmac_f32_e32 v157, 0xbf167918, v147
	;; [unrolled: 1-line block ×3, first 2 shown]
	v_fmamk_f32 v148, v161, 0xbf737871, v87
	v_fmac_f32_e32 v87, 0x3f737871, v161
	v_dual_add_f32 v168, v186, v169 :: v_dual_add_f32 v169, v187, v172
	v_dual_add_f32 v172, v164, v173 :: v_dual_add_f32 v173, v175, v194
	v_dual_fmac_f32 v81, -0.5, v174 :: v_dual_fmac_f32 v84, 0xbf737871, v145
	v_fma_f32 v80, -0.5, v179, v80
	v_dual_add_f32 v174, v189, v195 :: v_dual_fmamk_f32 v159, v188, 0xbf737871, v153
	v_fmac_f32_e32 v162, 0xbf167918, v145
	v_fmac_f32_e32 v149, 0x3f167918, v145
	v_add_f32_e32 v175, v180, v176
	v_dual_add_f32 v182, v184, v165 :: v_dual_fmamk_f32 v145, v170, 0xbf737871, v151
	v_fmac_f32_e32 v151, 0x3f737871, v170
	v_fmamk_f32 v165, v166, 0xbf737871, v81
	v_fmac_f32_e32 v84, 0x3f167918, v147
	v_fmamk_f32 v147, v160, 0x3f737871, v86
	v_fmac_f32_e32 v86, 0xbf737871, v160
	v_fmac_f32_e32 v163, 0x3f167918, v146
	;; [unrolled: 1-line block ×3, first 2 shown]
	v_dual_fmamk_f32 v146, v171, 0x3f737871, v152 :: v_dual_fmac_f32 v81, 0x3f737871, v166
	v_fmac_f32_e32 v152, 0xbf737871, v171
	v_fmamk_f32 v164, v167, 0x3f737871, v80
	v_fmac_f32_e32 v80, 0xbf737871, v167
	v_dual_add_f32 v176, v181, v177 :: v_dual_fmac_f32 v145, 0xbf167918, v160
	v_fmac_f32_e32 v153, 0x3f737871, v188
	v_fmac_f32_e32 v151, 0x3f167918, v160
	v_fmamk_f32 v160, v178, 0x3f737871, v154
	v_fmac_f32_e32 v154, 0xbf737871, v178
	v_fmac_f32_e32 v147, 0xbf167918, v170
	;; [unrolled: 1-line block ×6, first 2 shown]
	v_dual_fmac_f32 v152, 0xbf167918, v161 :: v_dual_fmac_f32 v81, 0xbf167918, v178
	v_fmac_f32_e32 v159, 0xbf167918, v167
	v_dual_fmac_f32 v80, 0x3f167918, v188 :: v_dual_fmac_f32 v153, 0x3f167918, v167
	v_fmac_f32_e32 v164, 0xbf167918, v188
	v_fmac_f32_e32 v160, 0x3f167918, v166
	v_fmac_f32_e32 v154, 0xbf167918, v166
	v_fmac_f32_e32 v165, 0x3f167918, v178
	v_dual_fmac_f32 v162, 0x3e9e377a, v88 :: v_dual_fmac_f32 v163, 0x3e9e377a, v197
	v_dual_fmac_f32 v157, 0x3e9e377a, v196 :: v_dual_fmac_f32 v158, 0x3e9e377a, v198
	;; [unrolled: 1-line block ×9, first 2 shown]
	global_wb scope:SCOPE_SE
	s_barrier_signal -1
	s_barrier_wait -1
	global_inv scope:SCOPE_SE
	v_dual_fmac_f32 v151, 0x3e9e377a, v169 :: v_dual_fmac_f32 v164, 0x3e9e377a, v175
	v_dual_fmac_f32 v153, 0x3e9e377a, v174 :: v_dual_fmac_f32 v154, 0x3e9e377a, v176
	;; [unrolled: 1-line block ×3, first 2 shown]
	ds_store_2addr_b64 v91, v[89:90], v[162:163] offset1:1
	ds_store_2addr_b64 v91, v[157:158], v[84:85] offset0:2 offset1:3
	ds_store_b64 v91, v[149:150] offset:32
	ds_store_2addr_b64 v135, v[147:148], v[86:87] offset0:2 offset1:3
	ds_store_2addr_b64 v135, v[82:83], v[145:146] offset1:1
	ds_store_b64 v135, v[151:152] offset:32
	ds_store_b64 v134, v[153:154] offset:32
	ds_store_2addr_b64 v134, v[155:156], v[159:160] offset1:1
	ds_store_2addr_b64 v134, v[164:165], v[80:81] offset0:2 offset1:3
	global_wb scope:SCOPE_SE
	s_wait_dscnt 0x0
	s_barrier_signal -1
	s_barrier_wait -1
	global_inv scope:SCOPE_SE
	ds_load_2addr_b64 v[80:83], v127 offset0:108 offset1:135
	ds_load_2addr_b64 v[88:91], v128 offset0:14 offset1:41
	;; [unrolled: 1-line block ×5, first 2 shown]
	ds_load_b64 v[134:135], v127 offset:3024
	ds_load_2addr_b64 v[153:156], v127 offset1:27
	ds_load_2addr_b64 v[157:160], v127 offset0:54 offset1:81
	v_mad_co_u64_u32 v[124:125], null, s4, v126, 0
	global_wb scope:SCOPE_SE
	s_wait_dscnt 0x0
	s_barrier_signal -1
	s_barrier_wait -1
	global_inv scope:SCOPE_SE
	s_mov_b32 s6, 0x30abee4d
	s_mov_b32 s7, 0x3f643a27
	v_mad_co_u64_u32 v[125:126], null, s5, v126, v[125:126]
	v_mul_f32_e32 v165, v11, v146
	v_mul_f32_e32 v167, v5, v150
	;; [unrolled: 1-line block ×6, first 2 shown]
	v_fmac_f32_e32 v167, v4, v149
	v_mul_f32_e32 v15, v15, v88
	v_mul_f32_e32 v17, v17, v84
	;; [unrolled: 1-line block ×8, first 2 shown]
	v_fmac_f32_e32 v161, v14, v88
	v_fmac_f32_e32 v169, v2, v134
	;; [unrolled: 1-line block ×4, first 2 shown]
	v_mul_f32_e32 v168, v1, v152
	v_mul_f32_e32 v1, v1, v151
	v_fma_f32 v12, v12, v83, -v13
	v_mul_f32_e32 v164, v9, v87
	v_mul_f32_e32 v9, v9, v86
	v_fma_f32 v13, v14, v89, -v15
	;; [unrolled: 3-line block ×3, first 2 shown]
	v_fma_f32 v15, v16, v85, -v17
	v_fma_f32 v4, v4, v150, -v5
	v_dual_add_f32 v5, v126, v161 :: v_dual_fmac_f32 v168, v0, v151
	v_fma_f32 v0, v0, v152, -v1
	v_dual_add_f32 v1, v154, v12 :: v_dual_fmac_f32 v164, v8, v86
	v_fma_f32 v8, v8, v87, -v9
	v_fma_f32 v9, v10, v146, -v11
	v_fmac_f32_e32 v162, v18, v90
	v_fma_f32 v11, v2, v135, -v3
	v_fmac_f32_e32 v165, v10, v145
	v_fma_f32 v10, v6, v148, -v7
	v_sub_f32_e32 v83, v8, v9
	v_dual_add_f32 v3, v12, v13 :: v_dual_fmac_f32 v166, v6, v147
	v_sub_f32_e32 v16, v12, v13
	v_dual_add_f32 v6, v156, v15 :: v_dual_add_f32 v1, v1, v13
	v_add_f32_e32 v7, v155, v163
	v_dual_sub_f32 v17, v126, v161 :: v_dual_add_f32 v2, v153, v126
	v_dual_add_f32 v85, v164, v165 :: v_dual_sub_f32 v18, v15, v14
	v_dual_add_f32 v87, v160, v4 :: v_dual_add_f32 v12, v15, v14
	v_sub_f32_e32 v135, v0, v11
	v_dual_add_f32 v15, v163, v162 :: v_dual_add_f32 v82, v158, v8
	v_add_f32_e32 v89, v4, v10
	v_add_f32_e32 v84, v8, v9
	v_dual_add_f32 v8, v157, v164 :: v_dual_add_f32 v145, v0, v11
	v_sub_f32_e32 v19, v163, v162
	v_dual_add_f32 v90, v159, v167 :: v_dual_add_f32 v147, v168, v169
	v_dual_add_f32 v91, v167, v166 :: v_dual_add_f32 v134, v81, v0
	s_delay_alu instid0(VALU_DEP_4)
	v_fmac_f32_e32 v81, -0.5, v145
	v_fma_f32 v3, -0.5, v3, v154
	v_fma_f32 v155, -0.5, v15, v155
	v_sub_f32_e32 v148, v168, v169
	v_fmac_f32_e32 v156, -0.5, v12
	v_add_f32_e32 v0, v2, v161
	v_fma_f32 v2, -0.5, v5, v153
	v_dual_sub_f32 v86, v164, v165 :: v_dual_add_f32 v5, v6, v14
	v_fma_f32 v12, -0.5, v85, v157
	v_fma_f32 v13, -0.5, v84, v158
	v_sub_f32_e32 v88, v4, v10
	v_dual_sub_f32 v126, v167, v166 :: v_dual_add_f32 v11, v134, v11
	v_dual_add_f32 v146, v80, v168 :: v_dual_fmamk_f32 v15, v17, 0x3f5db3d7, v3
	v_fma_f32 v159, -0.5, v91, v159
	v_fma_f32 v80, -0.5, v147, v80
	v_fmamk_f32 v14, v16, 0xbf5db3d7, v2
	v_fmac_f32_e32 v2, 0x3f5db3d7, v16
	v_fmamk_f32 v16, v18, 0xbf5db3d7, v155
	v_dual_fmac_f32 v155, 0x3f5db3d7, v18 :: v_dual_fmac_f32 v160, -0.5, v89
	v_dual_add_f32 v4, v7, v162 :: v_dual_fmac_f32 v3, 0xbf5db3d7, v17
	v_fmamk_f32 v85, v148, 0x3f5db3d7, v81
	v_fmamk_f32 v17, v19, 0x3f5db3d7, v156
	v_dual_fmac_f32 v156, 0xbf5db3d7, v19 :: v_dual_add_f32 v7, v82, v9
	v_dual_add_f32 v9, v87, v10 :: v_dual_add_f32 v6, v8, v165
	v_fmamk_f32 v19, v86, 0x3f5db3d7, v13
	v_fmamk_f32 v18, v83, 0xbf5db3d7, v12
	v_add_f32_e32 v8, v90, v166
	v_dual_add_f32 v10, v146, v169 :: v_dual_fmac_f32 v13, 0xbf5db3d7, v86
	v_fmac_f32_e32 v12, 0x3f5db3d7, v83
	v_fmamk_f32 v82, v88, 0xbf5db3d7, v159
	v_fmac_f32_e32 v159, 0x3f5db3d7, v88
	v_fmamk_f32 v84, v135, 0xbf5db3d7, v80
	v_fmac_f32_e32 v80, 0x3f5db3d7, v135
	v_fmac_f32_e32 v81, 0xbf5db3d7, v148
	v_fmamk_f32 v83, v126, 0x3f5db3d7, v160
	v_fmac_f32_e32 v160, 0xbf5db3d7, v126
	ds_store_2addr_b64 v133, v[0:1], v[14:15] offset1:5
	ds_store_b64 v133, v[2:3] offset:80
	ds_store_2addr_b64 v132, v[4:5], v[16:17] offset1:5
	ds_store_b64 v132, v[155:156] offset:80
	;; [unrolled: 2-line block ×5, first 2 shown]
	v_lshlrev_b64_e32 v[16:17], 3, v[122:123]
	global_wb scope:SCOPE_SE
	s_wait_dscnt 0x0
	s_barrier_signal -1
	s_barrier_wait -1
	global_inv scope:SCOPE_SE
	ds_load_2addr_b64 v[0:3], v127 offset0:108 offset1:135
	ds_load_2addr_b64 v[4:7], v128 offset0:14 offset1:41
	;; [unrolled: 1-line block ×4, first 2 shown]
	v_add_co_u32 v122, vcc_lo, s2, v16
	s_wait_alu 0xfffd
	v_add_co_ci_u32_e32 v123, vcc_lo, s3, v17, vcc_lo
	ds_load_2addr_b64 v[16:19], v127 offset0:216 offset1:243
	ds_load_2addr_b64 v[80:83], v127 offset1:27
	ds_load_2addr_b64 v[84:87], v127 offset0:54 offset1:81
	ds_load_b64 v[90:91], v127 offset:3024
	v_lshlrev_b64_e32 v[88:89], 3, v[124:125]
	global_wb scope:SCOPE_SE
	s_wait_dscnt 0x0
	s_barrier_signal -1
	s_barrier_wait -1
	global_inv scope:SCOPE_SE
	s_mul_i32 s2, s5, 0xfffff6b8
	s_wait_alu 0xfffe
	s_sub_co_i32 s2, s2, s4
	v_mul_f32_e32 v124, v29, v3
	v_mul_f32_e32 v29, v29, v2
	v_mul_f32_e32 v131, v35, v13
	v_mul_f32_e32 v125, v31, v5
	v_mul_f32_e32 v31, v31, v4
	v_mul_f32_e32 v126, v39, v7
	v_mul_f32_e32 v39, v39, v6
	v_mul_f32_e32 v129, v37, v9
	v_mul_f32_e32 v37, v37, v8
	v_mul_f32_e32 v130, v33, v11
	v_mul_f32_e32 v33, v33, v10
	v_dual_mul_f32 v35, v35, v12 :: v_dual_mul_f32 v132, v25, v17
	v_mul_f32_e32 v133, v27, v15
	v_mul_f32_e32 v25, v25, v16
	v_dual_mul_f32 v27, v27, v14 :: v_dual_mul_f32 v134, v21, v19
	v_mul_f32_e32 v21, v21, v18
	v_dual_mul_f32 v135, v23, v91 :: v_dual_fmac_f32 v124, v28, v2
	v_mul_f32_e32 v23, v23, v90
	v_fma_f32 v2, v28, v3, -v29
	v_dual_fmac_f32 v125, v30, v4 :: v_dual_fmac_f32 v130, v32, v10
	v_fma_f32 v3, v30, v5, -v31
	v_dual_fmac_f32 v126, v38, v6 :: v_dual_fmac_f32 v129, v36, v8
	v_fma_f32 v7, v38, v7, -v39
	v_fma_f32 v4, v36, v9, -v37
	;; [unrolled: 1-line block ×3, first 2 shown]
	v_dual_fmac_f32 v131, v34, v12 :: v_dual_fmac_f32 v134, v20, v18
	v_fma_f32 v9, v34, v13, -v35
	v_dual_fmac_f32 v132, v24, v16 :: v_dual_fmac_f32 v133, v26, v14
	v_fma_f32 v6, v24, v17, -v25
	v_fma_f32 v13, v26, v15, -v27
	v_fma_f32 v8, v20, v19, -v21
	v_dual_fmac_f32 v135, v22, v90 :: v_dual_add_f32 v10, v80, v124
	v_fma_f32 v15, v22, v91, -v23
	v_dual_add_f32 v11, v124, v125 :: v_dual_add_f32 v12, v81, v2
	v_dual_add_f32 v14, v2, v3 :: v_dual_add_f32 v19, v129, v126
	;; [unrolled: 1-line block ×5, first 2 shown]
	v_dual_sub_f32 v17, v2, v3 :: v_dual_sub_f32 v18, v124, v125
	v_dual_add_f32 v16, v82, v129 :: v_dual_add_f32 v21, v83, v4
	v_dual_sub_f32 v20, v4, v7 :: v_dual_sub_f32 v23, v129, v126
	v_dual_sub_f32 v26, v5, v9 :: v_dual_sub_f32 v29, v130, v131
	v_dual_add_f32 v30, v86, v132 :: v_dual_add_f32 v31, v132, v133
	v_dual_sub_f32 v32, v6, v13 :: v_dual_add_f32 v39, v1, v8
	v_dual_add_f32 v34, v6, v13 :: v_dual_add_f32 v3, v12, v3
	v_dual_add_f32 v36, v0, v134 :: v_dual_add_f32 v37, v134, v135
	;; [unrolled: 1-line block ×3, first 2 shown]
	v_fma_f32 v4, -0.5, v11, v80
	v_fma_f32 v5, -0.5, v14, v81
	v_dual_sub_f32 v38, v8, v15 :: v_dual_fmac_f32 v83, -0.5, v22
	v_fma_f32 v82, -0.5, v19, v82
	v_dual_add_f32 v2, v10, v125 :: v_dual_add_f32 v7, v21, v7
	v_fma_f32 v10, -0.5, v25, v84
	v_fma_f32 v11, -0.5, v28, v85
	v_sub_f32_e32 v35, v132, v133
	v_dual_sub_f32 v91, v134, v135 :: v_dual_add_f32 v6, v16, v126
	v_dual_add_f32 v12, v30, v133 :: v_dual_fmac_f32 v87, -0.5, v34
	v_fma_f32 v86, -0.5, v31, v86
	v_dual_add_f32 v14, v36, v135 :: v_dual_fmac_f32 v1, -0.5, v90
	v_fma_f32 v0, -0.5, v37, v0
	v_dual_add_f32 v15, v39, v15 :: v_dual_fmamk_f32 v16, v17, 0xbf5db3d7, v4
	v_dual_fmac_f32 v4, 0x3f5db3d7, v17 :: v_dual_fmamk_f32 v17, v18, 0x3f5db3d7, v5
	v_dual_fmac_f32 v5, 0xbf5db3d7, v18 :: v_dual_fmamk_f32 v18, v20, 0xbf5db3d7, v82
	v_dual_fmamk_f32 v19, v23, 0x3f5db3d7, v83 :: v_dual_fmac_f32 v82, 0x3f5db3d7, v20
	v_dual_fmac_f32 v83, 0xbf5db3d7, v23 :: v_dual_fmamk_f32 v20, v26, 0xbf5db3d7, v10
	v_dual_add_f32 v8, v24, v131 :: v_dual_add_f32 v13, v33, v13
	v_dual_fmac_f32 v10, 0x3f5db3d7, v26 :: v_dual_fmamk_f32 v21, v29, 0x3f5db3d7, v11
	v_dual_fmac_f32 v11, 0xbf5db3d7, v29 :: v_dual_fmamk_f32 v22, v32, 0xbf5db3d7, v86
	;; [unrolled: 1-line block ×5, first 2 shown]
	v_fmac_f32_e32 v1, 0xbf5db3d7, v91
	ds_store_2addr_b64 v136, v[2:3], v[16:17] offset1:15
	ds_store_b64 v136, v[4:5] offset:240
	ds_store_2addr_b64 v137, v[6:7], v[18:19] offset1:15
	ds_store_b64 v137, v[82:83] offset:240
	;; [unrolled: 2-line block ×5, first 2 shown]
	global_wb scope:SCOPE_SE
	s_wait_dscnt 0x0
	s_barrier_signal -1
	s_barrier_wait -1
	global_inv scope:SCOPE_SE
	ds_load_2addr_b64 v[4:7], v127 offset0:108 offset1:135
	ds_load_2addr_b64 v[8:11], v128 offset0:14 offset1:41
	;; [unrolled: 1-line block ×5, first 2 shown]
	ds_load_2addr_b64 v[24:27], v127 offset1:27
	ds_load_2addr_b64 v[28:31], v127 offset0:54 offset1:81
	ds_load_b64 v[32:33], v127 offset:3024
	global_wb scope:SCOPE_SE
	s_wait_dscnt 0x0
	s_barrier_signal -1
	s_barrier_wait -1
	global_inv scope:SCOPE_SE
	v_add_co_u32 v0, vcc_lo, v122, v88
	s_wait_alu 0xfffd
	v_add_co_ci_u32_e32 v1, vcc_lo, v123, v89, vcc_lo
	s_delay_alu instid0(VALU_DEP_2) | instskip(SKIP_1) | instid1(VALU_DEP_2)
	v_add_co_u32 v2, vcc_lo, v0, s0
	s_wait_alu 0xfffd
	v_add_co_ci_u32_e32 v3, vcc_lo, s1, v1, vcc_lo
	v_mul_f32_e32 v34, v57, v7
	v_dual_mul_f32 v36, v59, v9 :: v_dual_mul_f32 v35, v57, v6
	v_dual_mul_f32 v37, v59, v8 :: v_dual_mul_f32 v38, v53, v13
	s_delay_alu instid0(VALU_DEP_3) | instskip(SKIP_2) | instid1(VALU_DEP_4)
	v_dual_mul_f32 v39, v53, v12 :: v_dual_fmac_f32 v34, v56, v6
	v_dual_mul_f32 v53, v55, v11 :: v_dual_mul_f32 v80, v45, v21
	v_dual_mul_f32 v55, v55, v10 :: v_dual_mul_f32 v82, v41, v23
	v_dual_mul_f32 v57, v49, v15 :: v_dual_fmac_f32 v38, v52, v12
	s_delay_alu instid0(VALU_DEP_3) | instskip(NEXT) | instid1(VALU_DEP_3)
	v_dual_mul_f32 v49, v49, v14 :: v_dual_fmac_f32 v80, v44, v20
	v_dual_mul_f32 v59, v51, v17 :: v_dual_fmac_f32 v82, v40, v22
	;; [unrolled: 1-line block ×3, first 2 shown]
	v_fma_f32 v6, v56, v7, -v35
	v_fma_f32 v7, v58, v9, -v37
	;; [unrolled: 1-line block ×4, first 2 shown]
	v_mul_f32_e32 v41, v41, v22
	v_fma_f32 v9, v48, v15, -v49
	v_mul_f32_e32 v51, v51, v16
	v_mul_f32_e32 v45, v45, v20
	;; [unrolled: 1-line block ×3, first 2 shown]
	v_dual_mul_f32 v47, v47, v18 :: v_dual_sub_f32 v22, v34, v36
	v_mul_f32_e32 v43, v43, v32
	v_fmac_f32_e32 v57, v48, v14
	v_fmac_f32_e32 v59, v50, v16
	v_add_f32_e32 v20, v26, v38
	v_dual_fmac_f32 v83, v42, v32 :: v_dual_sub_f32 v32, v8, v11
	v_fma_f32 v12, v40, v23, -v41
	v_dual_add_f32 v40, v29, v9 :: v_dual_fmac_f32 v53, v54, v10
	v_add_f32_e32 v14, v24, v34
	v_fma_f32 v13, v50, v17, -v51
	v_fma_f32 v17, v46, v19, -v47
	v_add_f32_e32 v16, v25, v6
	v_fmac_f32_e32 v81, v46, v18
	v_add_f32_e32 v15, v34, v36
	v_add_f32_e32 v18, v6, v7
	v_fma_f32 v10, v44, v21, -v45
	v_add_f32_e32 v34, v8, v11
	v_fma_f32 v19, v42, v33, -v43
	v_add_f32_e32 v23, v38, v53
	v_dual_sub_f32 v21, v6, v7 :: v_dual_add_f32 v52, v5, v12
	v_dual_add_f32 v37, v28, v57 :: v_dual_add_f32 v6, v14, v36
	v_add_f32_e32 v44, v80, v81
	v_dual_sub_f32 v35, v38, v53 :: v_dual_add_f32 v38, v57, v59
	v_sub_f32_e32 v42, v57, v59
	v_add_f32_e32 v46, v31, v10
	v_dual_add_f32 v33, v27, v8 :: v_dual_add_f32 v50, v82, v83
	v_sub_f32_e32 v48, v80, v81
	v_add_f32_e32 v54, v12, v19
	v_fma_f32 v8, -0.5, v15, v24
	v_fma_f32 v26, -0.5, v23, v26
	v_sub_f32_e32 v39, v9, v13
	v_add_f32_e32 v41, v9, v13
	v_fma_f32 v9, -0.5, v18, v25
	v_add_f32_e32 v47, v10, v17
	v_add_f32_e32 v43, v30, v80
	;; [unrolled: 1-line block ×3, first 2 shown]
	v_sub_f32_e32 v45, v10, v17
	v_sub_f32_e32 v51, v12, v19
	v_add_f32_e32 v10, v20, v53
	v_fma_f32 v14, -0.5, v38, v28
	v_fmamk_f32 v20, v21, 0xbf5db3d7, v8
	v_dual_fmac_f32 v8, 0x3f5db3d7, v21 :: v_dual_fmamk_f32 v21, v22, 0x3f5db3d7, v9
	v_dual_fmac_f32 v9, 0xbf5db3d7, v22 :: v_dual_fmamk_f32 v22, v32, 0xbf5db3d7, v26
	v_dual_fmac_f32 v27, -0.5, v34 :: v_dual_fmac_f32 v26, 0x3f5db3d7, v32
	v_fma_f32 v15, -0.5, v41, v29
	v_dual_sub_f32 v55, v82, v83 :: v_dual_fmamk_f32 v24, v39, 0xbf5db3d7, v14
	v_fma_f32 v30, -0.5, v44, v30
	v_add_f32_e32 v7, v16, v7
	v_fmac_f32_e32 v31, -0.5, v47
	v_fma_f32 v4, -0.5, v50, v4
	v_dual_fmac_f32 v5, -0.5, v54 :: v_dual_add_f32 v12, v37, v59
	v_add_f32_e32 v16, v43, v81
	v_add_f32_e32 v18, v49, v83
	;; [unrolled: 1-line block ×3, first 2 shown]
	v_dual_fmac_f32 v14, 0x3f5db3d7, v39 :: v_dual_fmamk_f32 v23, v35, 0x3f5db3d7, v27
	v_fmac_f32_e32 v27, 0xbf5db3d7, v35
	v_dual_add_f32 v13, v40, v13 :: v_dual_fmamk_f32 v32, v51, 0xbf5db3d7, v4
	v_dual_add_f32 v17, v46, v17 :: v_dual_fmac_f32 v4, 0x3f5db3d7, v51
	v_add_f32_e32 v19, v52, v19
	v_fmamk_f32 v25, v42, 0x3f5db3d7, v15
	v_dual_fmac_f32 v15, 0xbf5db3d7, v42 :: v_dual_fmamk_f32 v28, v45, 0xbf5db3d7, v30
	v_dual_fmac_f32 v30, 0x3f5db3d7, v45 :: v_dual_fmamk_f32 v29, v48, 0x3f5db3d7, v31
	v_fmac_f32_e32 v31, 0xbf5db3d7, v48
	v_fmamk_f32 v33, v55, 0x3f5db3d7, v5
	v_fmac_f32_e32 v5, 0xbf5db3d7, v55
	ds_store_2addr_b64 v127, v[6:7], v[20:21] offset1:45
	ds_store_b64 v127, v[8:9] offset:720
	ds_store_2addr_b64 v143, v[10:11], v[22:23] offset1:45
	ds_store_b64 v143, v[26:27] offset:720
	ds_store_2addr_b64 v127, v[12:13], v[24:25] offset0:144 offset1:189
	ds_store_b64 v127, v[14:15] offset:1872
	ds_store_2addr_b64 v142, v[16:17], v[28:29] offset1:45
	ds_store_b64 v142, v[30:31] offset:720
	ds_store_2addr_b64 v144, v[18:19], v[32:33] offset0:14 offset1:59
	ds_store_b64 v141, v[4:5] offset:2880
	global_wb scope:SCOPE_SE
	s_wait_dscnt 0x0
	s_barrier_signal -1
	s_barrier_wait -1
	global_inv scope:SCOPE_SE
	ds_load_2addr_b64 v[10:13], v127 offset0:108 offset1:135
	ds_load_2addr_b64 v[14:17], v128 offset0:14 offset1:41
	;; [unrolled: 1-line block ×5, first 2 shown]
	ds_load_2addr_b64 v[30:33], v127 offset1:27
	ds_load_b64 v[38:39], v127 offset:3024
	ds_load_2addr_b64 v[34:37], v127 offset0:54 offset1:81
	v_add_co_u32 v4, vcc_lo, v2, s0
	s_wait_alu 0xfffd
	v_add_co_ci_u32_e32 v5, vcc_lo, s1, v3, vcc_lo
	s_delay_alu instid0(VALU_DEP_2) | instskip(SKIP_1) | instid1(VALU_DEP_2)
	v_add_co_u32 v6, vcc_lo, v4, s0
	s_wait_alu 0xfffd
	v_add_co_ci_u32_e32 v7, vcc_lo, s1, v5, vcc_lo
	s_delay_alu instid0(VALU_DEP_2) | instskip(SKIP_1) | instid1(VALU_DEP_2)
	v_add_co_u32 v8, vcc_lo, v6, s0
	s_wait_alu 0xfffd
	v_add_co_ci_u32_e32 v9, vcc_lo, s1, v7, vcc_lo
	s_wait_dscnt 0x7
	v_mul_f32_e32 v40, v69, v13
	s_wait_dscnt 0x6
	v_mul_f32_e32 v42, v71, v15
	v_mul_f32_e32 v46, v67, v17
	;; [unrolled: 1-line block ×3, first 2 shown]
	s_wait_dscnt 0x4
	v_dual_mul_f32 v50, v63, v23 :: v_dual_mul_f32 v41, v69, v12
	v_mul_f32_e32 v44, v65, v19
	v_mul_f32_e32 v48, v61, v21
	;; [unrolled: 1-line block ×3, first 2 shown]
	s_wait_dscnt 0x3
	v_dual_mul_f32 v52, v73, v27 :: v_dual_mul_f32 v47, v67, v16
	v_mul_f32_e32 v54, v75, v25
	v_mul_f32_e32 v51, v63, v22
	s_wait_dscnt 0x1
	v_dual_mul_f32 v58, v79, v39 :: v_dual_mul_f32 v49, v61, v20
	v_mul_f32_e32 v56, v77, v29
	v_dual_mul_f32 v53, v73, v26 :: v_dual_fmac_f32 v40, v68, v12
	v_mul_f32_e32 v59, v79, v38
	v_dual_fmac_f32 v42, v70, v14 :: v_dual_mul_f32 v57, v77, v28
	v_fmac_f32_e32 v46, v66, v16
	v_fmac_f32_e32 v50, v62, v22
	v_fma_f32 v12, v68, v13, -v41
	v_fma_f32 v13, v70, v15, -v43
	v_dual_mul_f32 v55, v75, v24 :: v_dual_fmac_f32 v44, v64, v18
	v_fmac_f32_e32 v48, v60, v20
	v_fma_f32 v14, v64, v19, -v45
	v_fmac_f32_e32 v52, v72, v26
	v_fma_f32 v17, v66, v17, -v47
	v_fmac_f32_e32 v54, v74, v24
	v_add_f32_e32 v24, v12, v13
	v_fma_f32 v19, v62, v23, -v51
	v_fmac_f32_e32 v58, v78, v38
	v_fma_f32 v15, v60, v21, -v49
	v_fma_f32 v23, v74, v25, -v55
	v_fmac_f32_e32 v56, v76, v28
	v_fma_f32 v16, v72, v27, -v53
	v_add_f32_e32 v20, v30, v40
	v_fma_f32 v25, v78, v39, -v59
	v_dual_add_f32 v21, v40, v42 :: v_dual_add_f32 v22, v31, v12
	v_sub_f32_e32 v28, v40, v42
	v_fma_f32 v18, v76, v29, -v57
	v_dual_add_f32 v26, v32, v44 :: v_dual_add_f32 v39, v33, v14
	v_dual_add_f32 v29, v44, v46 :: v_dual_sub_f32 v38, v14, v17
	v_dual_add_f32 v40, v14, v17 :: v_dual_sub_f32 v41, v44, v46
	s_wait_dscnt 0x0
	v_dual_add_f32 v43, v34, v48 :: v_dual_add_f32 v44, v48, v50
	v_dual_add_f32 v49, v15, v19 :: v_dual_sub_f32 v62, v18, v25
	v_dual_sub_f32 v27, v12, v13 :: v_dual_add_f32 v60, v10, v56
	v_dual_add_f32 v51, v36, v52 :: v_dual_add_f32 v64, v18, v25
	v_add_f32_e32 v59, v16, v23
	v_fma_f32 v14, -0.5, v21, v30
	v_add_f32_e32 v53, v52, v54
	v_add_f32_e32 v61, v56, v58
	v_dual_sub_f32 v45, v15, v19 :: v_dual_sub_f32 v48, v48, v50
	v_dual_add_f32 v47, v35, v15 :: v_dual_sub_f32 v52, v52, v54
	v_fma_f32 v15, -0.5, v24, v31
	v_dual_add_f32 v12, v20, v42 :: v_dual_add_f32 v13, v22, v13
	v_fma_f32 v32, -0.5, v29, v32
	v_dual_fmac_f32 v33, -0.5, v40 :: v_dual_add_f32 v22, v51, v54
	v_fma_f32 v20, -0.5, v44, v34
	v_fma_f32 v21, -0.5, v49, v35
	v_sub_f32_e32 v55, v16, v23
	v_dual_add_f32 v57, v37, v16 :: v_dual_sub_f32 v56, v56, v58
	v_add_f32_e32 v63, v11, v18
	v_add_f32_e32 v16, v26, v46
	v_dual_add_f32 v18, v43, v50 :: v_dual_fmac_f32 v37, -0.5, v59
	v_fmamk_f32 v30, v45, 0xbf5db3d7, v20
	v_fmamk_f32 v26, v27, 0xbf5db3d7, v14
	v_fma_f32 v36, -0.5, v53, v36
	v_dual_fmac_f32 v11, -0.5, v64 :: v_dual_fmac_f32 v14, 0x3f5db3d7, v27
	v_fma_f32 v10, -0.5, v61, v10
	v_fmamk_f32 v27, v28, 0x3f5db3d7, v15
	v_fmac_f32_e32 v15, 0xbf5db3d7, v28
	v_dual_add_f32 v17, v39, v17 :: v_dual_add_f32 v24, v60, v58
	v_fmamk_f32 v28, v38, 0xbf5db3d7, v32
	v_fmamk_f32 v29, v41, 0x3f5db3d7, v33
	;; [unrolled: 1-line block ×3, first 2 shown]
	v_dual_add_f32 v19, v47, v19 :: v_dual_fmac_f32 v32, 0x3f5db3d7, v38
	v_dual_add_f32 v23, v57, v23 :: v_dual_fmac_f32 v20, 0x3f5db3d7, v45
	v_add_f32_e32 v25, v63, v25
	v_fmac_f32_e32 v33, 0xbf5db3d7, v41
	v_dual_fmac_f32 v21, 0xbf5db3d7, v48 :: v_dual_fmamk_f32 v34, v55, 0xbf5db3d7, v36
	v_dual_fmac_f32 v36, 0x3f5db3d7, v55 :: v_dual_fmamk_f32 v35, v52, 0x3f5db3d7, v37
	;; [unrolled: 1-line block ×3, first 2 shown]
	v_dual_fmamk_f32 v39, v56, 0x3f5db3d7, v11 :: v_dual_fmac_f32 v10, 0x3f5db3d7, v62
	v_fmac_f32_e32 v11, 0xbf5db3d7, v56
	ds_store_b64 v127, v[26:27] offset:1080
	ds_store_b64 v127, v[14:15] offset:2160
	ds_store_2addr_b64 v127, v[12:13], v[16:17] offset1:27
	ds_store_2addr_b64 v127, v[28:29], v[30:31] offset0:162 offset1:189
	ds_store_2addr_b64 v128, v[32:33], v[20:21] offset0:41 offset1:68
	;; [unrolled: 1-line block ×3, first 2 shown]
	ds_store_b64 v127, v[36:37] offset:2808
	ds_store_b64 v127, v[24:25] offset:864
	ds_store_2addr_b64 v127, v[34:35], v[38:39] offset0:216 offset1:243
	ds_store_b64 v127, v[10:11] offset:3024
	global_wb scope:SCOPE_SE
	s_wait_dscnt 0x0
	s_barrier_signal -1
	s_barrier_wait -1
	global_inv scope:SCOPE_SE
	ds_load_2addr_b64 v[12:15], v127 offset1:27
	ds_load_2addr_b64 v[16:19], v127 offset0:54 offset1:81
	ds_load_2addr_b64 v[20:23], v127 offset0:162 offset1:189
	;; [unrolled: 1-line block ×5, first 2 shown]
	v_mad_co_u64_u32 v[10:11], null, 0xfffff6b8, s4, v[8:9]
	ds_load_2addr_b64 v[32:35], v127 offset0:108 offset1:135
	ds_load_b64 v[42:43], v127 offset:3024
	s_wait_alu 0xfffe
	v_add_nc_u32_e32 v11, s2, v11
	v_add_co_u32 v40, vcc_lo, v10, s0
	s_wait_dscnt 0x7
	v_mul_f32_e32 v44, v105, v13
	s_wait_dscnt 0x6
	v_dual_mul_f32 v45, v105, v12 :: v_dual_mul_f32 v64, v111, v17
	v_mul_f32_e32 v46, v97, v19
	s_wait_dscnt 0x2
	v_mul_f32_e32 v60, v117, v37
	s_wait_alu 0xfffd
	v_add_co_ci_u32_e32 v41, vcc_lo, s1, v11, vcc_lo
	v_add_co_u32 v74, vcc_lo, v40, s0
	s_wait_dscnt 0x1
	v_dual_mul_f32 v47, v97, v18 :: v_dual_mul_f32 v66, v115, v35
	s_wait_alu 0xfffd
	v_add_co_ci_u32_e32 v75, vcc_lo, s1, v41, vcc_lo
	v_add_co_u32 v76, vcc_lo, v74, s0
	v_mul_f32_e32 v48, v95, v21
	s_wait_alu 0xfffd
	s_delay_alu instid0(VALU_DEP_3)
	v_add_co_ci_u32_e32 v77, vcc_lo, s1, v75, vcc_lo
	v_dual_mul_f32 v49, v95, v20 :: v_dual_mul_f32 v62, v109, v31
	v_add_co_u32 v78, vcc_lo, v76, s0
	v_mul_f32_e32 v50, v93, v27
	v_dual_mul_f32 v51, v93, v26 :: v_dual_mul_f32 v68, v119, v25
	v_mul_f32_e32 v52, v99, v29
	v_dual_mul_f32 v53, v99, v28 :: v_dual_mul_f32 v70, v113, v39
	s_wait_alu 0xfffd
	v_add_co_ci_u32_e32 v79, vcc_lo, s1, v77, vcc_lo
	v_mul_f32_e32 v54, v101, v15
	v_dual_mul_f32 v55, v101, v14 :: v_dual_fmac_f32 v44, v104, v12
	v_fma_f32 v45, v104, v13, -v45
	v_mul_f32_e32 v56, v103, v33
	s_wait_dscnt 0x0
	v_dual_mul_f32 v57, v103, v32 :: v_dual_mul_f32 v72, v121, v43
	v_dual_mul_f32 v61, v117, v36 :: v_dual_fmac_f32 v46, v96, v18
	v_dual_mul_f32 v65, v111, v16 :: v_dual_fmac_f32 v50, v92, v26
	v_fma_f32 v18, v96, v19, -v47
	v_mul_f32_e32 v58, v107, v23
	v_dual_mul_f32 v59, v107, v22 :: v_dual_fmac_f32 v48, v94, v20
	v_fma_f32 v47, v94, v21, -v49
	v_dual_mul_f32 v69, v119, v24 :: v_dual_fmac_f32 v54, v100, v14
	v_fma_f32 v26, v92, v27, -v51
	v_dual_mul_f32 v63, v109, v30 :: v_dual_fmac_f32 v52, v98, v28
	v_fma_f32 v49, v98, v29, -v53
	v_mad_co_u64_u32 v[80:81], null, 0xfffff6b8, s4, v[78:79]
	v_dual_mul_f32 v67, v115, v34 :: v_dual_fmac_f32 v56, v102, v32
	v_fma_f32 v51, v100, v15, -v55
	v_cvt_f64_f32_e32 v[12:13], v44
	v_cvt_f64_f32_e32 v[14:15], v45
	v_dual_mul_f32 v71, v113, v38 :: v_dual_fmac_f32 v60, v116, v36
	v_dual_mul_f32 v73, v121, v42 :: v_dual_fmac_f32 v64, v110, v16
	v_fma_f32 v53, v102, v33, -v57
	v_fma_f32 v57, v116, v37, -v61
	;; [unrolled: 1-line block ×3, first 2 shown]
	v_cvt_f64_f32_e32 v[16:17], v46
	v_cvt_f64_f32_e32 v[18:19], v18
	v_dual_fmac_f32 v58, v106, v22 :: v_dual_add_nc_u32 v81, s2, v81
	v_fma_f32 v55, v106, v23, -v59
	v_cvt_f64_f32_e32 v[20:21], v48
	v_cvt_f64_f32_e32 v[22:23], v47
	v_fmac_f32_e32 v68, v118, v24
	v_fma_f32 v65, v118, v25, -v69
	v_cvt_f64_f32_e32 v[24:25], v50
	v_cvt_f64_f32_e32 v[26:27], v26
	v_fmac_f32_e32 v62, v108, v30
	v_fma_f32 v59, v108, v31, -v63
	v_cvt_f64_f32_e32 v[28:29], v52
	v_cvt_f64_f32_e32 v[30:31], v49
	v_fmac_f32_e32 v66, v114, v34
	v_fma_f32 v63, v114, v35, -v67
	v_cvt_f64_f32_e32 v[32:33], v54
	v_cvt_f64_f32_e32 v[34:35], v51
	v_fmac_f32_e32 v70, v112, v38
	v_fma_f32 v69, v112, v39, -v71
	v_cvt_f64_f32_e32 v[36:37], v56
	v_cvt_f64_f32_e32 v[38:39], v53
	v_fmac_f32_e32 v72, v120, v42
	v_fma_f32 v73, v120, v43, -v73
	v_cvt_f64_f32_e32 v[42:43], v58
	v_cvt_f64_f32_e32 v[44:45], v55
	;; [unrolled: 1-line block ×16, first 2 shown]
	v_mul_f64_e32 v[12:13], s[6:7], v[12:13]
	v_mul_f64_e32 v[14:15], s[6:7], v[14:15]
	v_mul_f64_e32 v[16:17], s[6:7], v[16:17]
	v_mul_f64_e32 v[18:19], s[6:7], v[18:19]
	v_mul_f64_e32 v[20:21], s[6:7], v[20:21]
	v_mul_f64_e32 v[22:23], s[6:7], v[22:23]
	v_mul_f64_e32 v[24:25], s[6:7], v[24:25]
	v_mul_f64_e32 v[26:27], s[6:7], v[26:27]
	v_mul_f64_e32 v[28:29], s[6:7], v[28:29]
	v_mul_f64_e32 v[30:31], s[6:7], v[30:31]
	v_mul_f64_e32 v[32:33], s[6:7], v[32:33]
	v_mul_f64_e32 v[34:35], s[6:7], v[34:35]
	v_mul_f64_e32 v[36:37], s[6:7], v[36:37]
	v_mul_f64_e32 v[38:39], s[6:7], v[38:39]
	v_mul_f64_e32 v[42:43], s[6:7], v[42:43]
	v_mul_f64_e32 v[44:45], s[6:7], v[44:45]
	v_mul_f64_e32 v[46:47], s[6:7], v[46:47]
	v_mul_f64_e32 v[48:49], s[6:7], v[48:49]
	v_mul_f64_e32 v[50:51], s[6:7], v[50:51]
	v_mul_f64_e32 v[52:53], s[6:7], v[52:53]
	v_mul_f64_e32 v[54:55], s[6:7], v[54:55]
	v_mul_f64_e32 v[56:57], s[6:7], v[56:57]
	v_mul_f64_e32 v[58:59], s[6:7], v[58:59]
	v_mul_f64_e32 v[60:61], s[6:7], v[60:61]
	v_mul_f64_e32 v[62:63], s[6:7], v[62:63]
	v_mul_f64_e32 v[64:65], s[6:7], v[64:65]
	v_mul_f64_e32 v[66:67], s[6:7], v[66:67]
	v_mul_f64_e32 v[68:69], s[6:7], v[68:69]
	v_mul_f64_e32 v[70:71], s[6:7], v[70:71]
	v_mul_f64_e32 v[72:73], s[6:7], v[72:73]
	v_cvt_f32_f64_e32 v12, v[12:13]
	v_cvt_f32_f64_e32 v13, v[14:15]
	;; [unrolled: 1-line block ×30, first 2 shown]
	v_add_co_u32 v44, vcc_lo, v80, s0
	s_wait_alu 0xfffd
	v_add_co_ci_u32_e32 v45, vcc_lo, s1, v81, vcc_lo
	s_delay_alu instid0(VALU_DEP_2) | instskip(SKIP_1) | instid1(VALU_DEP_2)
	v_add_co_u32 v46, vcc_lo, v44, s0
	s_wait_alu 0xfffd
	v_add_co_ci_u32_e32 v47, vcc_lo, s1, v45, vcc_lo
	s_delay_alu instid0(VALU_DEP_2) | instskip(SKIP_1) | instid1(VALU_DEP_2)
	;; [unrolled: 4-line block ×3, first 2 shown]
	v_add_co_u32 v50, vcc_lo, v48, s0
	s_wait_alu 0xfffd
	v_add_co_ci_u32_e32 v51, vcc_lo, s1, v49, vcc_lo
	s_clause 0x4
	global_store_b64 v[0:1], v[12:13], off
	global_store_b64 v[2:3], v[14:15], off
	;; [unrolled: 1-line block ×15, first 2 shown]
.LBB0_2:
	s_nop 0
	s_sendmsg sendmsg(MSG_DEALLOC_VGPRS)
	s_endpgm
	.section	.rodata,"a",@progbits
	.p2align	6, 0x0
	.amdhsa_kernel bluestein_single_back_len405_dim1_sp_op_CI_CI
		.amdhsa_group_segment_fixed_size 12960
		.amdhsa_private_segment_fixed_size 0
		.amdhsa_kernarg_size 104
		.amdhsa_user_sgpr_count 2
		.amdhsa_user_sgpr_dispatch_ptr 0
		.amdhsa_user_sgpr_queue_ptr 0
		.amdhsa_user_sgpr_kernarg_segment_ptr 1
		.amdhsa_user_sgpr_dispatch_id 0
		.amdhsa_user_sgpr_private_segment_size 0
		.amdhsa_wavefront_size32 1
		.amdhsa_uses_dynamic_stack 0
		.amdhsa_enable_private_segment 0
		.amdhsa_system_sgpr_workgroup_id_x 1
		.amdhsa_system_sgpr_workgroup_id_y 0
		.amdhsa_system_sgpr_workgroup_id_z 0
		.amdhsa_system_sgpr_workgroup_info 0
		.amdhsa_system_vgpr_workitem_id 0
		.amdhsa_next_free_vgpr 199
		.amdhsa_next_free_sgpr 20
		.amdhsa_reserve_vcc 1
		.amdhsa_float_round_mode_32 0
		.amdhsa_float_round_mode_16_64 0
		.amdhsa_float_denorm_mode_32 3
		.amdhsa_float_denorm_mode_16_64 3
		.amdhsa_fp16_overflow 0
		.amdhsa_workgroup_processor_mode 1
		.amdhsa_memory_ordered 1
		.amdhsa_forward_progress 0
		.amdhsa_round_robin_scheduling 0
		.amdhsa_exception_fp_ieee_invalid_op 0
		.amdhsa_exception_fp_denorm_src 0
		.amdhsa_exception_fp_ieee_div_zero 0
		.amdhsa_exception_fp_ieee_overflow 0
		.amdhsa_exception_fp_ieee_underflow 0
		.amdhsa_exception_fp_ieee_inexact 0
		.amdhsa_exception_int_div_zero 0
	.end_amdhsa_kernel
	.text
.Lfunc_end0:
	.size	bluestein_single_back_len405_dim1_sp_op_CI_CI, .Lfunc_end0-bluestein_single_back_len405_dim1_sp_op_CI_CI
                                        ; -- End function
	.section	.AMDGPU.csdata,"",@progbits
; Kernel info:
; codeLenInByte = 13584
; NumSgprs: 22
; NumVgprs: 199
; ScratchSize: 0
; MemoryBound: 0
; FloatMode: 240
; IeeeMode: 1
; LDSByteSize: 12960 bytes/workgroup (compile time only)
; SGPRBlocks: 2
; VGPRBlocks: 24
; NumSGPRsForWavesPerEU: 22
; NumVGPRsForWavesPerEU: 199
; Occupancy: 7
; WaveLimiterHint : 1
; COMPUTE_PGM_RSRC2:SCRATCH_EN: 0
; COMPUTE_PGM_RSRC2:USER_SGPR: 2
; COMPUTE_PGM_RSRC2:TRAP_HANDLER: 0
; COMPUTE_PGM_RSRC2:TGID_X_EN: 1
; COMPUTE_PGM_RSRC2:TGID_Y_EN: 0
; COMPUTE_PGM_RSRC2:TGID_Z_EN: 0
; COMPUTE_PGM_RSRC2:TIDIG_COMP_CNT: 0
	.text
	.p2alignl 7, 3214868480
	.fill 96, 4, 3214868480
	.type	__hip_cuid_dd4eb38d19acb7f9,@object ; @__hip_cuid_dd4eb38d19acb7f9
	.section	.bss,"aw",@nobits
	.globl	__hip_cuid_dd4eb38d19acb7f9
__hip_cuid_dd4eb38d19acb7f9:
	.byte	0                               ; 0x0
	.size	__hip_cuid_dd4eb38d19acb7f9, 1

	.ident	"AMD clang version 19.0.0git (https://github.com/RadeonOpenCompute/llvm-project roc-6.4.0 25133 c7fe45cf4b819c5991fe208aaa96edf142730f1d)"
	.section	".note.GNU-stack","",@progbits
	.addrsig
	.addrsig_sym __hip_cuid_dd4eb38d19acb7f9
	.amdgpu_metadata
---
amdhsa.kernels:
  - .args:
      - .actual_access:  read_only
        .address_space:  global
        .offset:         0
        .size:           8
        .value_kind:     global_buffer
      - .actual_access:  read_only
        .address_space:  global
        .offset:         8
        .size:           8
        .value_kind:     global_buffer
      - .actual_access:  read_only
        .address_space:  global
        .offset:         16
        .size:           8
        .value_kind:     global_buffer
      - .actual_access:  read_only
        .address_space:  global
        .offset:         24
        .size:           8
        .value_kind:     global_buffer
      - .actual_access:  read_only
        .address_space:  global
        .offset:         32
        .size:           8
        .value_kind:     global_buffer
      - .offset:         40
        .size:           8
        .value_kind:     by_value
      - .address_space:  global
        .offset:         48
        .size:           8
        .value_kind:     global_buffer
      - .address_space:  global
        .offset:         56
        .size:           8
        .value_kind:     global_buffer
      - .address_space:  global
        .offset:         64
        .size:           8
        .value_kind:     global_buffer
      - .address_space:  global
        .offset:         72
        .size:           8
        .value_kind:     global_buffer
      - .offset:         80
        .size:           4
        .value_kind:     by_value
      - .address_space:  global
        .offset:         88
        .size:           8
        .value_kind:     global_buffer
      - .address_space:  global
        .offset:         96
        .size:           8
        .value_kind:     global_buffer
    .group_segment_fixed_size: 12960
    .kernarg_segment_align: 8
    .kernarg_segment_size: 104
    .language:       OpenCL C
    .language_version:
      - 2
      - 0
    .max_flat_workgroup_size: 108
    .name:           bluestein_single_back_len405_dim1_sp_op_CI_CI
    .private_segment_fixed_size: 0
    .sgpr_count:     22
    .sgpr_spill_count: 0
    .symbol:         bluestein_single_back_len405_dim1_sp_op_CI_CI.kd
    .uniform_work_group_size: 1
    .uses_dynamic_stack: false
    .vgpr_count:     199
    .vgpr_spill_count: 0
    .wavefront_size: 32
    .workgroup_processor_mode: 1
amdhsa.target:   amdgcn-amd-amdhsa--gfx1201
amdhsa.version:
  - 1
  - 2
...

	.end_amdgpu_metadata
